;; amdgpu-corpus repo=pytorch/pytorch kind=compiled arch=gfx1201 opt=O3
	.amdgcn_target "amdgcn-amd-amdhsa--gfx1201"
	.amdhsa_code_object_version 6
	.section	.text._ZN2at6native12_GLOBAL__N_121max_pool_forward_nhwcIdiEEvPKT_iT0_S6_S6_S6_S6_iiiiiiiiS6_S6_S6_S6_iiPS3_Pl,"axG",@progbits,_ZN2at6native12_GLOBAL__N_121max_pool_forward_nhwcIdiEEvPKT_iT0_S6_S6_S6_S6_iiiiiiiiS6_S6_S6_S6_iiPS3_Pl,comdat
	.globl	_ZN2at6native12_GLOBAL__N_121max_pool_forward_nhwcIdiEEvPKT_iT0_S6_S6_S6_S6_iiiiiiiiS6_S6_S6_S6_iiPS3_Pl ; -- Begin function _ZN2at6native12_GLOBAL__N_121max_pool_forward_nhwcIdiEEvPKT_iT0_S6_S6_S6_S6_iiiiiiiiS6_S6_S6_S6_iiPS3_Pl
	.p2align	8
	.type	_ZN2at6native12_GLOBAL__N_121max_pool_forward_nhwcIdiEEvPKT_iT0_S6_S6_S6_S6_iiiiiiiiS6_S6_S6_S6_iiPS3_Pl,@function
_ZN2at6native12_GLOBAL__N_121max_pool_forward_nhwcIdiEEvPKT_iT0_S6_S6_S6_S6_iiiiiiiiS6_S6_S6_S6_iiPS3_Pl: ; @_ZN2at6native12_GLOBAL__N_121max_pool_forward_nhwcIdiEEvPKT_iT0_S6_S6_S6_S6_iiiiiiiiS6_S6_S6_S6_iiPS3_Pl
; %bb.0:
	s_clause 0x1
	s_load_b128 s[4:7], s[0:1], 0x6c
	s_load_b128 s[24:27], s[0:1], 0x48
	v_bfe_u32 v3, v0, 10, 10
	v_bfe_u32 v1, v0, 20, 10
	v_and_b32_e32 v6, 0x3ff, v0
	s_mov_b32 s3, exec_lo
	s_wait_kmcnt 0x0
	s_lshr_b32 s33, s6, 16
	s_and_b32 s39, s6, 0xffff
	v_mad_u32_u24 v9, v1, s33, v3
	s_mul_i32 s28, s27, s39
	s_and_b32 s34, s7, 0xffff
	s_mul_i32 s2, s28, s33
	s_delay_alu instid0(SALU_CYCLE_1) | instskip(SKIP_1) | instid1(VALU_DEP_1)
	s_mul_i32 s2, s2, s34
	v_mad_co_u64_u32 v[4:5], null, v9, s39, v[6:7]
	v_cmpx_gt_u32_e64 s2, v4
	s_cbranch_execz .LBB0_3
; %bb.1:
	v_dual_mov_b32 v7, 0 :: v_dual_lshlrev_b32 v2, 3, v4
	s_lshl_b32 s7, s2, 2
	s_mul_i32 s6, s33, s39
	v_lshl_add_u32 v0, v4, 2, 0
	s_delay_alu instid0(VALU_DEP_2)
	v_add3_u32 v2, 0, s7, v2
	v_mov_b32_e32 v8, 0xfff00000
	s_mul_i32 s6, s6, s34
	s_mov_b32 s7, 0
	s_wait_alu 0xfffe
	s_lshl_b32 s8, s6, 3
	s_lshl_b32 s9, s6, 2
.LBB0_2:                                ; =>This Inner Loop Header: Depth=1
	v_add_nc_u32_e32 v4, s6, v4
	ds_store_b64 v2, v[7:8]
	ds_store_b32 v0, v7
	v_add_nc_u32_e32 v2, s8, v2
	v_add_nc_u32_e32 v0, s9, v0
	v_cmp_le_u32_e32 vcc_lo, s2, v4
	s_or_b32 s7, vcc_lo, s7
	s_wait_alu 0xfffe
	s_and_not1_b32 exec_lo, exec_lo, s7
	s_cbranch_execnz .LBB0_2
.LBB0_3:
	s_or_b32 exec_lo, exec_lo, s3
	s_cvt_f32_u32 s3, s5
	s_load_b512 s[8:23], s[0:1], 0x8
	s_sub_co_i32 s6, 0, s5
	s_wait_dscnt 0x0
	v_rcp_iflag_f32_e32 v0, s3
	s_barrier_signal -1
	s_barrier_wait -1
	global_inv scope:SCOPE_SE
	v_readfirstlane_b32 s3, v0
	s_mul_f32 s3, s3, 0x4f7ffffe
	s_wait_kmcnt 0x0
	s_add_co_i32 s7, s12, s5
	s_wait_alu 0xfffe
	s_add_co_i32 s7, s7, -1
	s_cvt_u32_f32 s3, s3
	s_wait_alu 0xfffe
	s_delay_alu instid0(SALU_CYCLE_2)
	s_mul_i32 s6, s6, s3
	s_wait_alu 0xfffe
	s_mul_hi_u32 s6, s3, s6
	s_wait_alu 0xfffe
	s_add_co_i32 s3, s3, s6
	s_wait_alu 0xfffe
	s_mul_hi_u32 s3, s7, s3
	s_wait_alu 0xfffe
	s_mul_i32 s6, s3, s5
	s_wait_alu 0xfffe
	s_sub_co_i32 s6, s7, s6
	s_add_co_i32 s7, s3, 1
	s_wait_alu 0xfffe
	s_sub_co_i32 s29, s6, s5
	s_cmp_ge_u32 s6, s5
	s_cselect_b32 s3, s7, s3
	s_cselect_b32 s6, s29, s6
	s_wait_alu 0xfffe
	s_add_co_i32 s7, s3, 1
	s_cmp_ge_u32 s6, s5
	s_cvt_f32_u32 s6, s4
	s_wait_alu 0xfffe
	s_cselect_b32 s3, s7, s3
	s_lshr_b32 s5, ttmp7, 16
	s_mov_b32 s7, 0
	s_wait_alu 0xfffe
	v_mad_co_u64_u32 v[0:1], null, s3, s5, v[1:2]
	s_cvt_f32_u32 s5, s8
	v_rcp_iflag_f32_e32 v2, s6
	s_mov_b32 s6, exec_lo
	s_wait_alu 0xfffe
	v_rcp_iflag_f32_e32 v1, s5
	v_add_nc_u32_e32 v4, s3, v0
	s_delay_alu instid0(TRANS32_DEP_2) | instskip(NEXT) | instid1(VALU_DEP_2)
	v_readfirstlane_b32 s3, v2
	v_min_i32_e32 v32, s12, v4
	s_delay_alu instid0(TRANS32_DEP_1) | instskip(NEXT) | instid1(VALU_DEP_2)
	v_readfirstlane_b32 s5, v1
	v_cmpx_lt_i32_e64 v0, v32
	s_cbranch_execz .LBB0_74
; %bb.4:
	s_mul_f32 s5, s5, 0x4f7ffffe
	s_mul_f32 s3, s3, 0x4f7ffffe
	s_sub_co_i32 s30, 0, s8
	s_sub_co_i32 s36, 0, s4
	s_wait_alu 0xfffe
	s_cvt_u32_f32 s5, s5
	s_cvt_u32_f32 s3, s3
	s_mov_b32 s6, ttmp9
	s_mov_b32 s31, s7
	s_wait_alu 0xfffe
	s_mul_i32 s30, s30, s5
	s_mul_i32 s36, s36, s3
	s_mul_hi_u32 s30, s5, s30
	s_lshl_b32 s2, s2, 2
	s_add_co_i32 s30, s5, s30
	s_mul_hi_u32 s5, s3, s36
	s_mul_u64 s[30:31], s[6:7], s[30:31]
	s_wait_alu 0xfffe
	s_add_co_i32 s38, s2, 0
	s_add_co_i32 s2, s3, s5
	s_mul_i32 s3, s31, s8
	s_add_co_i32 s35, s13, s4
	s_wait_alu 0xfffe
	s_sub_co_i32 s5, ttmp9, s3
	s_and_b32 s29, ttmp7, 0xffff
	s_add_co_i32 s6, s35, -1
	s_add_co_i32 s30, s31, 1
	s_wait_alu 0xfffe
	s_sub_co_i32 s35, s5, s8
	s_cmp_ge_u32 s5, s8
	s_mov_b32 s3, s7
	s_cselect_b32 s30, s30, s31
	s_cselect_b32 s5, s35, s5
	s_add_co_i32 s31, s30, 1
	s_wait_alu 0xfffe
	s_cmp_ge_u32 s5, s8
	s_mul_i32 s12, s12, s9
	s_cselect_b32 s5, s31, s30
	s_wait_alu 0xfffe
	s_mul_i32 s12, s12, s13
	s_mul_i32 s8, s5, s8
	s_mul_u64 s[30:31], s[6:7], s[2:3]
	s_wait_alu 0xfffe
	s_sub_co_i32 s8, ttmp9, s8
	v_mad_co_u64_u32 v[1:2], null, s5, s39, v[6:7]
	s_wait_alu 0xfffe
	s_mul_i32 s2, s12, s8
	s_mul_i32 s40, s8, s22
	;; [unrolled: 1-line block ×3, first 2 shown]
	s_ashr_i32 s41, s40, 31
	s_wait_alu 0xfffe
	s_sub_co_i32 s6, s6, s8
	s_ashr_i32 s3, s2, 31
	s_lshl_b64 s[40:41], s[40:41], 3
	s_add_co_i32 s8, s31, 1
	s_wait_alu 0xfffe
	s_sub_co_i32 s12, s6, s4
	s_cmp_ge_u32 s6, s4
	s_load_b64 s[36:37], s[0:1], 0x0
	s_cselect_b32 s5, s8, s31
	s_cselect_b32 s6, s12, s6
	s_wait_alu 0xfffe
	s_add_co_i32 s8, s5, 1
	s_cmp_ge_u32 s6, s4
	s_mul_i32 s12, s26, s39
	s_wait_alu 0xfffe
	s_cselect_b32 s4, s8, s5
	s_add_co_i32 s5, s14, -1
	s_wait_alu 0xfffe
	v_mad_co_u64_u32 v[3:4], null, s4, s29, v[3:4]
	s_mul_i32 s6, s20, s5
	s_add_co_i32 s5, s15, -1
	v_mul_lo_u32 v4, v1, s23
	s_wait_alu 0xfffe
	s_mul_i32 s8, s21, s5
	s_max_i32 s5, s14, s15
	s_add_co_i32 s6, s6, 1
	v_add_nc_u32_e32 v5, s4, v3
	s_wait_alu 0xfffe
	s_add_co_i32 s8, s8, 1
	s_cmp_lt_i32 s5, 4
	v_lshlrev_b32_e32 v12, 3, v9
	s_cselect_b32 s5, -1, 0
	s_cmp_le_u32 s9, s12
	v_min_i32_e32 v33, s13, v5
	v_ashrrev_i32_e32 v5, 31, v4
	s_cselect_b32 s4, -1, 0
	v_mul_lo_u32 v2, s28, v9
	s_wait_alu 0xfffe
	s_and_b32 s35, s5, s4
	s_mul_i32 s4, s33, s34
	v_lshlrev_b64_e32 v[7:8], 3, v[4:5]
	s_wait_alu 0xfffe
	v_lshl_add_u32 v5, s4, 2, v12
	v_mul_lo_u32 v9, s27, v9
	s_max_u32 s26, s20, 1
	s_load_b128 s[28:31], s[0:1], 0x58
	s_cvt_f32_u32 s22, s26
	s_wait_kmcnt 0x0
	s_add_nc_u64 s[14:15], s[36:37], s[40:41]
	v_mul_lo_u32 v5, s27, v5
	v_add_co_u32 v34, vcc_lo, s14, v7
	s_wait_alu 0xfffe
	v_rcp_iflag_f32_e32 v10, s22
	v_add_co_ci_u32_e64 v35, null, s15, v8, vcc_lo
	v_mul_lo_u32 v8, v9, s39
	v_lshlrev_b32_e32 v11, 3, v2
	v_mul_lo_u32 v5, v5, s39
	v_lshlrev_b32_e32 v2, 2, v2
	v_lshlrev_b32_e32 v7, 3, v6
	;; [unrolled: 1-line block ×3, first 2 shown]
	s_lshl_b64 s[2:3], s[2:3], 3
	s_delay_alu instid0(TRANS32_DEP_1)
	v_readfirstlane_b32 s5, v10
	v_lshlrev_b32_e32 v8, 2, v8
	v_add3_u32 v36, s38, v11, v7
	v_add3_u32 v37, 0, v2, v6
	v_ashrrev_i32_e32 v2, 31, v1
	v_add3_u32 v38, v5, v7, 0
	v_add3_u32 v39, v8, v6, 0
	v_mad_co_u64_u32 v[7:8], null, s13, v0, v[3:4]
	s_mul_f32 s4, s5, 0x4f7ffffe
	v_lshlrev_b64_e32 v[5:6], 3, v[1:2]
	s_sub_co_i32 s5, 0, s26
	v_cmp_lt_i32_e64 s0, v3, v33
	s_wait_alu 0xfffe
	s_cvt_u32_f32 s4, s4
	v_cmp_gt_i32_e64 s1, s9, v1
	v_mul_lo_u32 v41, s9, v7
	v_add_co_u32 v2, vcc_lo, s2, v5
	s_wait_alu 0xfffe
	s_mul_i32 s5, s5, s4
	s_wait_alu 0xfffd
	v_add_co_ci_u32_e64 v40, null, s3, v6, vcc_lo
	v_dual_mov_b32 v5, 0 :: v_dual_mov_b32 v6, 0xfff00000
	s_wait_alu 0xfffe
	s_mul_hi_u32 s5, s4, s5
	s_mul_i32 s40, s13, s9
	s_ashr_i32 s13, s12, 31
	s_lshl_b32 s27, s21, 1
	s_wait_alu 0xfffe
	s_add_co_i32 s36, s4, s5
	s_mul_i32 s37, s12, s23
	s_lshl_b32 s38, s39, 3
	s_lshl_b32 s39, s39, 2
	s_mul_i32 s40, s40, s34
	s_mul_i32 s41, s9, s33
	s_lshl_b64 s[22:23], s[12:13], 3
	s_branch .LBB0_6
.LBB0_5:                                ;   in Loop: Header=BB0_6 Depth=1
	s_wait_alu 0xfffe
	s_or_b32 exec_lo, exec_lo, s13
	v_add_nc_u32_e32 v0, s34, v0
	v_add_nc_u32_e32 v41, s40, v41
	s_delay_alu instid0(VALU_DEP_2)
	v_cmp_ge_i32_e32 vcc_lo, v0, v32
	s_or_b32 s7, vcc_lo, s7
	s_wait_alu 0xfffe
	s_and_not1_b32 exec_lo, exec_lo, s7
	s_cbranch_execz .LBB0_74
.LBB0_6:                                ; =>This Loop Header: Depth=1
                                        ;     Child Loop BB0_9 Depth 2
                                        ;       Child Loop BB0_10 Depth 3
                                        ;       Child Loop BB0_63 Depth 3
                                        ;         Child Loop BB0_66 Depth 4
                                        ;           Child Loop BB0_69 Depth 5
                                        ;       Child Loop BB0_73 Depth 3
	s_and_saveexec_b32 s13, s0
	s_cbranch_execz .LBB0_5
; %bb.7:                                ;   in Loop: Header=BB0_6 Depth=1
	v_mul_lo_u32 v7, v0, s16
	v_mov_b32_e32 v43, v3
	s_mov_b32 s42, 0
	v_mov_b32_e32 v9, v41
	s_delay_alu instid0(VALU_DEP_3) | instskip(NEXT) | instid1(VALU_DEP_1)
	v_subrev_nc_u32_e32 v7, s18, v7
	v_add_nc_u32_e32 v8, s6, v7
	s_delay_alu instid0(VALU_DEP_1)
	v_min_i32_e32 v42, s10, v8
	s_branch .LBB0_9
.LBB0_8:                                ;   in Loop: Header=BB0_9 Depth=2
	s_wait_alu 0xfffe
	s_or_b32 exec_lo, exec_lo, s2
	v_add_nc_u32_e32 v43, s33, v43
	v_add_nc_u32_e32 v9, s41, v9
	s_delay_alu instid0(VALU_DEP_2) | instskip(SKIP_1) | instid1(SALU_CYCLE_1)
	v_cmp_ge_i32_e32 vcc_lo, v43, v33
	s_or_b32 s42, vcc_lo, s42
	s_and_not1_b32 exec_lo, exec_lo, s42
	s_cbranch_execz .LBB0_5
.LBB0_9:                                ;   Parent Loop BB0_6 Depth=1
                                        ; =>  This Loop Header: Depth=2
                                        ;       Child Loop BB0_10 Depth 3
                                        ;       Child Loop BB0_63 Depth 3
                                        ;         Child Loop BB0_66 Depth 4
                                        ;           Child Loop BB0_69 Depth 5
                                        ;       Child Loop BB0_73 Depth 3
	v_mul_lo_u32 v8, v43, s17
	s_mov_b32 s2, 0
	s_delay_alu instid0(VALU_DEP_1) | instskip(NEXT) | instid1(VALU_DEP_1)
	v_subrev_nc_u32_e32 v10, s19, v8
	v_mov_b32_e32 v45, v10
.LBB0_10:                               ;   Parent Loop BB0_6 Depth=1
                                        ;     Parent Loop BB0_9 Depth=2
                                        ; =>    This Inner Loop Header: Depth=3
	s_delay_alu instid0(VALU_DEP_1) | instskip(NEXT) | instid1(VALU_DEP_1)
	v_mov_b32_e32 v44, v45
	v_cmp_lt_i32_e32 vcc_lo, -1, v44
	v_add_nc_u32_e32 v45, s21, v44
	s_wait_alu 0xfffe
	s_or_b32 s2, vcc_lo, s2
	s_wait_alu 0xfffe
	s_and_not1_b32 exec_lo, exec_lo, s2
	s_cbranch_execnz .LBB0_10
; %bb.11:                               ;   in Loop: Header=BB0_9 Depth=2
	s_or_b32 exec_lo, exec_lo, s2
	v_lshrrev_b32_e32 v8, 31, v7
	v_max_i32_e32 v11, 0, v7
	s_mov_b32 s2, -1
	s_delay_alu instid0(VALU_DEP_2) | instskip(NEXT) | instid1(VALU_DEP_1)
	v_add_nc_u32_e32 v12, v7, v8
	v_sub_nc_u32_e32 v11, v11, v12
	s_delay_alu instid0(VALU_DEP_1) | instskip(NEXT) | instid1(VALU_DEP_1)
	v_mul_hi_u32 v12, v11, s36
	v_mul_lo_u32 v13, v12, s26
	s_delay_alu instid0(VALU_DEP_1) | instskip(SKIP_1) | instid1(VALU_DEP_2)
	v_sub_nc_u32_e32 v11, v11, v13
	v_add_nc_u32_e32 v13, 1, v12
	v_subrev_nc_u32_e32 v14, s26, v11
	v_cmp_le_u32_e32 vcc_lo, s26, v11
	s_wait_alu 0xfffd
	s_delay_alu instid0(VALU_DEP_2) | instskip(NEXT) | instid1(VALU_DEP_1)
	v_dual_cndmask_b32 v12, v12, v13 :: v_dual_cndmask_b32 v11, v11, v14
	v_add_nc_u32_e32 v13, 1, v12
	s_delay_alu instid0(VALU_DEP_2) | instskip(SKIP_1) | instid1(VALU_DEP_2)
	v_cmp_le_u32_e32 vcc_lo, s26, v11
	s_wait_alu 0xfffd
	v_cndmask_b32_e32 v11, v12, v13, vcc_lo
	s_and_b32 vcc_lo, exec_lo, s35
	s_delay_alu instid0(VALU_DEP_1) | instskip(NEXT) | instid1(VALU_DEP_1)
	v_add_nc_u32_e32 v8, v8, v11
	v_mad_co_u64_u32 v[7:8], null, s20, v8, v[7:8]
	v_add_nc_u32_e32 v8, s8, v10
	s_delay_alu instid0(VALU_DEP_1) | instskip(NEXT) | instid1(VALU_DEP_3)
	v_min_i32_e32 v8, s11, v8
	v_cmp_lt_i32_e64 s4, v7, v42
	s_wait_alu 0xfffe
	s_cbranch_vccnz .LBB0_14
; %bb.12:                               ;   in Loop: Header=BB0_9 Depth=2
	s_and_b32 vcc_lo, exec_lo, s2
	s_wait_alu 0xfffe
	s_cbranch_vccnz .LBB0_60
.LBB0_13:                               ;   in Loop: Header=BB0_9 Depth=2
	s_and_saveexec_b32 s2, s1
	s_cbranch_execz .LBB0_8
	s_branch .LBB0_72
.LBB0_14:                               ;   in Loop: Header=BB0_9 Depth=2
	v_mul_lo_u32 v10, v7, s24
	v_mul_lo_u32 v26, v44, s25
	v_cmp_lt_i32_e32 vcc_lo, v44, v8
	v_mov_b32_e32 v14, 0
	v_mov_b32_e32 v15, 0
	v_ashrrev_i32_e32 v11, 31, v10
	v_ashrrev_i32_e32 v27, 31, v26
	s_delay_alu instid0(VALU_DEP_2) | instskip(SKIP_2) | instid1(VALU_DEP_3)
	v_lshlrev_b64_e32 v[12:13], 3, v[10:11]
	v_mov_b32_e32 v10, 0
	v_mov_b32_e32 v11, 0
	v_add_co_u32 v16, s2, v34, v12
	s_wait_alu 0xf1ff
	s_delay_alu instid0(VALU_DEP_4) | instskip(SKIP_3) | instid1(SALU_CYCLE_1)
	v_add_co_ci_u32_e64 v17, null, v35, v13, s2
	s_and_b32 s2, s4, vcc_lo
	s_wait_alu 0xfffe
	s_and_b32 s43, s1, s2
	s_and_saveexec_b32 s3, s43
	s_cbranch_execz .LBB0_16
; %bb.15:                               ;   in Loop: Header=BB0_9 Depth=2
	v_lshlrev_b64_e32 v[12:13], 3, v[26:27]
	s_delay_alu instid0(VALU_DEP_1) | instskip(SKIP_1) | instid1(VALU_DEP_2)
	v_add_co_u32 v12, s2, v16, v12
	s_wait_alu 0xf1ff
	v_add_co_ci_u32_e64 v13, null, v17, v13, s2
	global_load_b64 v[14:15], v[12:13], off
.LBB0_16:                               ;   in Loop: Header=BB0_9 Depth=2
	s_wait_alu 0xfffe
	s_or_b32 exec_lo, exec_lo, s3
	v_mul_lo_u32 v28, v45, s25
	v_cmp_lt_i32_e64 s2, v45, v8
	s_and_b32 s3, s4, s2
	s_wait_alu 0xfffe
	s_and_b32 s44, s1, s3
	v_ashrrev_i32_e32 v29, 31, v28
	s_and_saveexec_b32 s5, s44
	s_cbranch_execz .LBB0_18
; %bb.17:                               ;   in Loop: Header=BB0_9 Depth=2
	s_delay_alu instid0(VALU_DEP_1) | instskip(NEXT) | instid1(VALU_DEP_1)
	v_lshlrev_b64_e32 v[10:11], 3, v[28:29]
	v_add_co_u32 v10, s3, v16, v10
	s_wait_alu 0xf1ff
	s_delay_alu instid0(VALU_DEP_2)
	v_add_co_ci_u32_e64 v11, null, v17, v11, s3
	global_load_b64 v[10:11], v[10:11], off
.LBB0_18:                               ;   in Loop: Header=BB0_9 Depth=2
	s_wait_alu 0xfffe
	s_or_b32 exec_lo, exec_lo, s5
	v_add_nc_u32_e32 v46, s27, v44
	v_mov_b32_e32 v12, 0
	v_dual_mov_b32 v13, 0 :: v_dual_mov_b32 v18, 0
	v_mov_b32_e32 v19, 0
	s_delay_alu instid0(VALU_DEP_4)
	v_mul_lo_u32 v30, v46, s25
	v_cmp_lt_i32_e64 s3, v46, v8
	s_and_b32 s4, s4, s3
	s_wait_alu 0xfffe
	s_and_b32 s45, s1, s4
	v_ashrrev_i32_e32 v31, 31, v30
	s_and_saveexec_b32 s5, s45
	s_cbranch_execz .LBB0_20
; %bb.19:                               ;   in Loop: Header=BB0_9 Depth=2
	s_delay_alu instid0(VALU_DEP_1) | instskip(NEXT) | instid1(VALU_DEP_1)
	v_lshlrev_b64_e32 v[18:19], 3, v[30:31]
	v_add_co_u32 v16, s4, v16, v18
	s_wait_alu 0xf1ff
	s_delay_alu instid0(VALU_DEP_2)
	v_add_co_ci_u32_e64 v17, null, v17, v19, s4
	global_load_b64 v[18:19], v[16:17], off
.LBB0_20:                               ;   in Loop: Header=BB0_9 Depth=2
	s_wait_alu 0xfffe
	s_or_b32 exec_lo, exec_lo, s5
	v_add_nc_u32_e32 v47, s20, v7
	s_delay_alu instid0(VALU_DEP_1) | instskip(SKIP_1) | instid1(VALU_DEP_2)
	v_mul_lo_u32 v16, v47, s24
	v_cmp_lt_i32_e64 s4, v47, v42
	v_ashrrev_i32_e32 v17, 31, v16
	s_delay_alu instid0(VALU_DEP_1) | instskip(NEXT) | instid1(VALU_DEP_1)
	v_lshlrev_b64_e32 v[16:17], 3, v[16:17]
	v_add_co_u32 v20, s5, v34, v16
	s_wait_alu 0xf1ff
	s_delay_alu instid0(VALU_DEP_2) | instskip(SKIP_3) | instid1(SALU_CYCLE_1)
	v_add_co_ci_u32_e64 v21, null, v35, v17, s5
	s_and_b32 s5, s4, vcc_lo
	s_wait_alu 0xfffe
	s_and_b32 s46, s1, s5
	s_and_saveexec_b32 s47, s46
	s_cbranch_execz .LBB0_22
; %bb.21:                               ;   in Loop: Header=BB0_9 Depth=2
	v_lshlrev_b64_e32 v[12:13], 3, v[26:27]
	s_delay_alu instid0(VALU_DEP_1) | instskip(SKIP_1) | instid1(VALU_DEP_2)
	v_add_co_u32 v12, s5, v20, v12
	s_wait_alu 0xf1ff
	v_add_co_ci_u32_e64 v13, null, v21, v13, s5
	global_load_b64 v[12:13], v[12:13], off
.LBB0_22:                               ;   in Loop: Header=BB0_9 Depth=2
	s_or_b32 exec_lo, exec_lo, s47
	v_mov_b32_e32 v16, 0
	v_dual_mov_b32 v17, 0 :: v_dual_mov_b32 v22, 0
	v_mov_b32_e32 v23, 0
	s_and_b32 s5, s4, s2
	s_wait_alu 0xfffe
	s_and_b32 s48, s1, s5
	s_delay_alu instid0(SALU_CYCLE_1)
	s_and_saveexec_b32 s47, s48
	s_cbranch_execz .LBB0_24
; %bb.23:                               ;   in Loop: Header=BB0_9 Depth=2
	v_lshlrev_b64_e32 v[22:23], 3, v[28:29]
	s_delay_alu instid0(VALU_DEP_1) | instskip(SKIP_1) | instid1(VALU_DEP_2)
	v_add_co_u32 v22, s5, v20, v22
	s_wait_alu 0xf1ff
	v_add_co_ci_u32_e64 v23, null, v21, v23, s5
	global_load_b64 v[22:23], v[22:23], off
.LBB0_24:                               ;   in Loop: Header=BB0_9 Depth=2
	s_or_b32 exec_lo, exec_lo, s47
	s_and_b32 s4, s4, s3
	s_wait_alu 0xfffe
	s_and_b32 s47, s1, s4
	s_delay_alu instid0(SALU_CYCLE_1)
	s_and_saveexec_b32 s5, s47
	s_cbranch_execz .LBB0_26
; %bb.25:                               ;   in Loop: Header=BB0_9 Depth=2
	v_lshlrev_b64_e32 v[16:17], 3, v[30:31]
	s_delay_alu instid0(VALU_DEP_1) | instskip(SKIP_1) | instid1(VALU_DEP_2)
	v_add_co_u32 v16, s4, v20, v16
	s_wait_alu 0xf1ff
	v_add_co_ci_u32_e64 v17, null, v21, v17, s4
	global_load_b64 v[16:17], v[16:17], off
.LBB0_26:                               ;   in Loop: Header=BB0_9 Depth=2
	s_wait_alu 0xfffe
	s_or_b32 exec_lo, exec_lo, s5
	v_add_nc_u32_e32 v48, s20, v47
	v_mov_b32_e32 v24, 0
	v_mov_b32_e32 v25, 0
	s_delay_alu instid0(VALU_DEP_3) | instskip(NEXT) | instid1(VALU_DEP_1)
	v_mul_lo_u32 v20, v48, s24
	v_ashrrev_i32_e32 v21, 31, v20
	s_delay_alu instid0(VALU_DEP_1) | instskip(SKIP_3) | instid1(VALU_DEP_4)
	v_lshlrev_b64_e32 v[49:50], 3, v[20:21]
	v_mov_b32_e32 v20, 0
	v_mov_b32_e32 v21, 0
	v_cmp_lt_i32_e64 s4, v48, v42
	v_add_co_u32 v49, s5, v34, v49
	s_wait_alu 0xf1ff
	v_add_co_ci_u32_e64 v50, null, v35, v50, s5
	s_and_b32 s5, s4, vcc_lo
	s_wait_alu 0xfffe
	s_and_b32 s49, s1, s5
	s_delay_alu instid0(SALU_CYCLE_1)
	s_and_saveexec_b32 s5, s49
	s_cbranch_execz .LBB0_28
; %bb.27:                               ;   in Loop: Header=BB0_9 Depth=2
	v_lshlrev_b64_e32 v[24:25], 3, v[26:27]
	s_delay_alu instid0(VALU_DEP_1) | instskip(SKIP_1) | instid1(VALU_DEP_2)
	v_add_co_u32 v24, vcc_lo, v49, v24
	s_wait_alu 0xfffd
	v_add_co_ci_u32_e64 v25, null, v50, v25, vcc_lo
	global_load_b64 v[24:25], v[24:25], off
.LBB0_28:                               ;   in Loop: Header=BB0_9 Depth=2
	s_wait_alu 0xfffe
	s_or_b32 exec_lo, exec_lo, s5
	s_and_b32 s2, s4, s2
	s_wait_alu 0xfffe
	s_and_b32 s5, s1, s2
	s_wait_alu 0xfffe
	s_and_saveexec_b32 s2, s5
	s_cbranch_execz .LBB0_30
; %bb.29:                               ;   in Loop: Header=BB0_9 Depth=2
	v_lshlrev_b64_e32 v[20:21], 3, v[28:29]
	s_delay_alu instid0(VALU_DEP_1) | instskip(SKIP_1) | instid1(VALU_DEP_2)
	v_add_co_u32 v20, vcc_lo, v49, v20
	s_wait_alu 0xfffd
	v_add_co_ci_u32_e64 v21, null, v50, v21, vcc_lo
	global_load_b64 v[20:21], v[20:21], off
.LBB0_30:                               ;   in Loop: Header=BB0_9 Depth=2
	s_wait_alu 0xfffe
	s_or_b32 exec_lo, exec_lo, s2
	v_mov_b32_e32 v26, 0
	v_mov_b32_e32 v27, 0
	s_and_b32 s2, s4, s3
	s_wait_alu 0xfffe
	s_and_b32 s3, s1, s2
	s_wait_alu 0xfffe
	s_and_saveexec_b32 s2, s3
	s_cbranch_execz .LBB0_32
; %bb.31:                               ;   in Loop: Header=BB0_9 Depth=2
	v_lshlrev_b64_e32 v[26:27], 3, v[30:31]
	s_delay_alu instid0(VALU_DEP_1) | instskip(SKIP_1) | instid1(VALU_DEP_2)
	v_add_co_u32 v26, vcc_lo, v49, v26
	s_wait_alu 0xfffd
	v_add_co_ci_u32_e64 v27, null, v50, v27, vcc_lo
	global_load_b64 v[26:27], v[26:27], off
.LBB0_32:                               ;   in Loop: Header=BB0_9 Depth=2
	s_wait_alu 0xfffe
	s_or_b32 exec_lo, exec_lo, s2
	v_mul_lo_u32 v28, v7, s11
	s_and_saveexec_b32 s4, s43
	s_cbranch_execz .LBB0_35
; %bb.33:                               ;   in Loop: Header=BB0_9 Depth=2
	ds_load_b64 v[29:30], v36
	s_wait_loadcnt 0x0
	v_cmp_u_f64_e64 s2, v[14:15], v[14:15]
	s_wait_dscnt 0x0
	v_cmp_gt_f64_e32 vcc_lo, v[14:15], v[29:30]
	s_or_b32 s2, s2, vcc_lo
	s_wait_alu 0xfffe
	s_and_b32 exec_lo, exec_lo, s2
	s_cbranch_execz .LBB0_35
; %bb.34:                               ;   in Loop: Header=BB0_9 Depth=2
	v_add_nc_u32_e32 v29, v44, v28
	ds_store_b64 v36, v[14:15]
	ds_store_b32 v37, v29
.LBB0_35:                               ;   in Loop: Header=BB0_9 Depth=2
	s_wait_alu 0xfffe
	s_or_b32 exec_lo, exec_lo, s4
	s_and_saveexec_b32 s4, s44
	s_cbranch_execz .LBB0_38
; %bb.36:                               ;   in Loop: Header=BB0_9 Depth=2
	s_wait_loadcnt 0x0
	ds_load_b64 v[14:15], v36
	v_cmp_u_f64_e64 s2, v[10:11], v[10:11]
	s_wait_dscnt 0x0
	v_cmp_gt_f64_e32 vcc_lo, v[10:11], v[14:15]
	s_or_b32 s2, s2, vcc_lo
	s_wait_alu 0xfffe
	s_and_b32 exec_lo, exec_lo, s2
	s_cbranch_execz .LBB0_38
; %bb.37:                               ;   in Loop: Header=BB0_9 Depth=2
	v_add_nc_u32_e32 v14, v45, v28
	ds_store_b64 v36, v[10:11]
	ds_store_b32 v37, v14
.LBB0_38:                               ;   in Loop: Header=BB0_9 Depth=2
	s_wait_alu 0xfffe
	s_or_b32 exec_lo, exec_lo, s4
	s_and_saveexec_b32 s4, s45
	s_cbranch_execz .LBB0_41
; %bb.39:                               ;   in Loop: Header=BB0_9 Depth=2
	s_wait_loadcnt 0x0
	ds_load_b64 v[10:11], v36
	v_cmp_u_f64_e64 s2, v[18:19], v[18:19]
	s_wait_dscnt 0x0
	v_cmp_gt_f64_e32 vcc_lo, v[18:19], v[10:11]
	s_or_b32 s2, s2, vcc_lo
	s_wait_alu 0xfffe
	s_and_b32 exec_lo, exec_lo, s2
	s_cbranch_execz .LBB0_41
; %bb.40:                               ;   in Loop: Header=BB0_9 Depth=2
	v_add_nc_u32_e32 v10, v46, v28
	ds_store_b64 v36, v[18:19]
	ds_store_b32 v37, v10
.LBB0_41:                               ;   in Loop: Header=BB0_9 Depth=2
	s_wait_alu 0xfffe
	s_or_b32 exec_lo, exec_lo, s4
	s_wait_loadcnt 0x0
	v_mul_lo_u32 v10, v47, s11
	s_and_saveexec_b32 s4, s46
	s_cbranch_execz .LBB0_44
; %bb.42:                               ;   in Loop: Header=BB0_9 Depth=2
	ds_load_b64 v[14:15], v36
	v_cmp_u_f64_e64 s2, v[12:13], v[12:13]
	s_wait_dscnt 0x0
	v_cmp_gt_f64_e32 vcc_lo, v[12:13], v[14:15]
	s_or_b32 s2, s2, vcc_lo
	s_wait_alu 0xfffe
	s_and_b32 exec_lo, exec_lo, s2
	s_cbranch_execz .LBB0_44
; %bb.43:                               ;   in Loop: Header=BB0_9 Depth=2
	v_add_nc_u32_e32 v11, v44, v10
	ds_store_b64 v36, v[12:13]
	ds_store_b32 v37, v11
.LBB0_44:                               ;   in Loop: Header=BB0_9 Depth=2
	s_wait_alu 0xfffe
	s_or_b32 exec_lo, exec_lo, s4
	s_and_saveexec_b32 s4, s48
	s_cbranch_execz .LBB0_47
; %bb.45:                               ;   in Loop: Header=BB0_9 Depth=2
	ds_load_b64 v[11:12], v36
	v_cmp_u_f64_e64 s2, v[22:23], v[22:23]
	s_wait_dscnt 0x0
	v_cmp_gt_f64_e32 vcc_lo, v[22:23], v[11:12]
	s_or_b32 s2, s2, vcc_lo
	s_wait_alu 0xfffe
	s_and_b32 exec_lo, exec_lo, s2
	s_cbranch_execz .LBB0_47
; %bb.46:                               ;   in Loop: Header=BB0_9 Depth=2
	v_add_nc_u32_e32 v11, v45, v10
	ds_store_b64 v36, v[22:23]
	ds_store_b32 v37, v11
.LBB0_47:                               ;   in Loop: Header=BB0_9 Depth=2
	s_wait_alu 0xfffe
	s_or_b32 exec_lo, exec_lo, s4
	;; [unrolled: 18-line block ×3, first 2 shown]
	v_mul_lo_u32 v10, v48, s11
	s_and_saveexec_b32 s4, s49
	s_cbranch_execz .LBB0_53
; %bb.51:                               ;   in Loop: Header=BB0_9 Depth=2
	ds_load_b64 v[11:12], v36
	v_cmp_u_f64_e64 s2, v[24:25], v[24:25]
	s_wait_dscnt 0x0
	v_cmp_gt_f64_e32 vcc_lo, v[24:25], v[11:12]
	s_or_b32 s2, s2, vcc_lo
	s_wait_alu 0xfffe
	s_and_b32 exec_lo, exec_lo, s2
	s_cbranch_execz .LBB0_53
; %bb.52:                               ;   in Loop: Header=BB0_9 Depth=2
	v_add_nc_u32_e32 v11, v44, v10
	ds_store_b64 v36, v[24:25]
	ds_store_b32 v37, v11
.LBB0_53:                               ;   in Loop: Header=BB0_9 Depth=2
	s_wait_alu 0xfffe
	s_or_b32 exec_lo, exec_lo, s4
	s_and_saveexec_b32 s4, s5
	s_cbranch_execz .LBB0_56
; %bb.54:                               ;   in Loop: Header=BB0_9 Depth=2
	ds_load_b64 v[11:12], v36
	v_cmp_u_f64_e64 s2, v[20:21], v[20:21]
	s_wait_dscnt 0x0
	v_cmp_gt_f64_e32 vcc_lo, v[20:21], v[11:12]
	s_or_b32 s2, s2, vcc_lo
	s_wait_alu 0xfffe
	s_and_b32 exec_lo, exec_lo, s2
	s_cbranch_execz .LBB0_56
; %bb.55:                               ;   in Loop: Header=BB0_9 Depth=2
	v_add_nc_u32_e32 v11, v45, v10
	ds_store_b64 v36, v[20:21]
	ds_store_b32 v37, v11
.LBB0_56:                               ;   in Loop: Header=BB0_9 Depth=2
	s_wait_alu 0xfffe
	s_or_b32 exec_lo, exec_lo, s4
	;; [unrolled: 18-line block ×3, first 2 shown]
	s_branch .LBB0_13
.LBB0_60:                               ;   in Loop: Header=BB0_9 Depth=2
	s_mov_b32 s4, exec_lo
	v_cmpx_lt_i32_e64 v7, v42
	s_cbranch_execz .LBB0_71
; %bb.61:                               ;   in Loop: Header=BB0_9 Depth=2
	v_mov_b32_e32 v13, v7
	s_mov_b32 s5, 0
	v_cmp_lt_i32_e32 vcc_lo, v44, v8
	s_branch .LBB0_63
.LBB0_62:                               ;   in Loop: Header=BB0_63 Depth=3
	s_or_b32 exec_lo, exec_lo, s43
	v_add_nc_u32_e32 v13, s20, v13
	s_delay_alu instid0(VALU_DEP_1)
	v_cmp_ge_i32_e64 s2, v13, v42
	s_wait_alu 0xfffe
	s_or_b32 s5, s2, s5
	s_wait_alu 0xfffe
	s_and_not1_b32 exec_lo, exec_lo, s5
	s_cbranch_execz .LBB0_71
.LBB0_63:                               ;   Parent Loop BB0_6 Depth=1
                                        ;     Parent Loop BB0_9 Depth=2
                                        ; =>    This Loop Header: Depth=3
                                        ;         Child Loop BB0_66 Depth 4
                                        ;           Child Loop BB0_69 Depth 5
	s_and_saveexec_b32 s43, vcc_lo
	s_cbranch_execz .LBB0_62
; %bb.64:                               ;   in Loop: Header=BB0_63 Depth=3
	v_mul_lo_u32 v10, v13, s24
	v_mul_lo_u32 v14, v13, s11
	v_mov_b32_e32 v17, v44
	s_mov_b32 s44, 0
	s_delay_alu instid0(VALU_DEP_3) | instskip(NEXT) | instid1(VALU_DEP_1)
	v_ashrrev_i32_e32 v11, 31, v10
	v_lshlrev_b64_e32 v[10:11], 3, v[10:11]
	s_delay_alu instid0(VALU_DEP_1) | instskip(SKIP_1) | instid1(VALU_DEP_2)
	v_add_co_u32 v15, s2, s14, v10
	s_wait_alu 0xf1ff
	v_add_co_ci_u32_e64 v16, null, s15, v11, s2
	s_branch .LBB0_66
.LBB0_65:                               ;   in Loop: Header=BB0_66 Depth=4
	s_or_b32 exec_lo, exec_lo, s45
	v_add_nc_u32_e32 v17, s21, v17
	s_delay_alu instid0(VALU_DEP_1) | instskip(SKIP_1) | instid1(SALU_CYCLE_1)
	v_cmp_ge_i32_e64 s2, v17, v8
	s_or_b32 s44, s2, s44
	s_and_not1_b32 exec_lo, exec_lo, s44
	s_cbranch_execz .LBB0_62
.LBB0_66:                               ;   Parent Loop BB0_6 Depth=1
                                        ;     Parent Loop BB0_9 Depth=2
                                        ;       Parent Loop BB0_63 Depth=3
                                        ; =>      This Loop Header: Depth=4
                                        ;           Child Loop BB0_69 Depth 5
	s_and_saveexec_b32 s45, s1
	s_cbranch_execz .LBB0_65
; %bb.67:                               ;   in Loop: Header=BB0_66 Depth=4
	v_mul_lo_u32 v10, v17, s25
	v_dual_mov_b32 v19, v39 :: v_dual_add_nc_u32 v18, v17, v14
	v_dual_mov_b32 v20, v38 :: v_dual_mov_b32 v23, v1
	s_mov_b32 s46, 0
	s_delay_alu instid0(VALU_DEP_3) | instskip(NEXT) | instid1(VALU_DEP_1)
	v_ashrrev_i32_e32 v11, 31, v10
	v_lshlrev_b64_e32 v[11:12], 3, v[10:11]
	v_mov_b32_e32 v10, v4
	s_delay_alu instid0(VALU_DEP_2) | instskip(SKIP_1) | instid1(VALU_DEP_3)
	v_add_co_u32 v21, s2, v15, v11
	s_wait_alu 0xf1ff
	v_add_co_ci_u32_e64 v22, null, v16, v12, s2
	s_branch .LBB0_69
.LBB0_68:                               ;   in Loop: Header=BB0_69 Depth=5
	s_wait_alu 0xfffe
	s_or_b32 exec_lo, exec_lo, s2
	v_add_nc_u32_e32 v23, s12, v23
	v_add_nc_u32_e32 v10, s37, v10
	;; [unrolled: 1-line block ×4, first 2 shown]
	s_delay_alu instid0(VALU_DEP_4) | instskip(SKIP_1) | instid1(SALU_CYCLE_1)
	v_cmp_le_i32_e64 s2, s9, v23
	s_or_b32 s46, s2, s46
	s_and_not1_b32 exec_lo, exec_lo, s46
	s_cbranch_execz .LBB0_65
.LBB0_69:                               ;   Parent Loop BB0_6 Depth=1
                                        ;     Parent Loop BB0_9 Depth=2
                                        ;       Parent Loop BB0_63 Depth=3
                                        ;         Parent Loop BB0_66 Depth=4
                                        ; =>        This Inner Loop Header: Depth=5
	v_ashrrev_i32_e32 v11, 31, v10
	ds_load_b64 v[24:25], v20
	v_lshlrev_b64_e32 v[11:12], 3, v[10:11]
	s_delay_alu instid0(VALU_DEP_1) | instskip(SKIP_1) | instid1(VALU_DEP_2)
	v_add_co_u32 v11, s2, v21, v11
	s_wait_alu 0xf1ff
	v_add_co_ci_u32_e64 v12, null, v22, v12, s2
	global_load_b64 v[11:12], v[11:12], off
	s_wait_loadcnt_dscnt 0x0
	v_cmp_gt_f64_e64 s2, v[11:12], v[24:25]
	v_cmp_u_f64_e64 s3, v[11:12], v[11:12]
	s_or_b32 s3, s3, s2
	s_wait_alu 0xfffe
	s_and_saveexec_b32 s2, s3
	s_cbranch_execz .LBB0_68
; %bb.70:                               ;   in Loop: Header=BB0_69 Depth=5
	ds_store_b64 v20, v[11:12]
	ds_store_b32 v19, v18
	s_branch .LBB0_68
.LBB0_71:                               ;   in Loop: Header=BB0_9 Depth=2
	s_wait_alu 0xfffe
	s_or_b32 exec_lo, exec_lo, s4
	s_and_saveexec_b32 s2, s1
	s_cbranch_execz .LBB0_8
.LBB0_72:                               ;   in Loop: Header=BB0_9 Depth=2
	v_ashrrev_i32_e32 v10, 31, v9
	v_dual_mov_b32 v8, v39 :: v_dual_mov_b32 v13, v1
	s_mov_b32 s3, 0
	s_delay_alu instid0(VALU_DEP_2) | instskip(SKIP_1) | instid1(VALU_DEP_2)
	v_lshlrev_b64_e32 v[11:12], 3, v[9:10]
	v_mov_b32_e32 v10, v38
	v_add_co_u32 v11, vcc_lo, v2, v11
	s_wait_alu 0xfffd
	s_delay_alu instid0(VALU_DEP_3)
	v_add_co_ci_u32_e64 v12, null, v40, v12, vcc_lo
.LBB0_73:                               ;   Parent Loop BB0_6 Depth=1
                                        ;     Parent Loop BB0_9 Depth=2
                                        ; =>    This Inner Loop Header: Depth=3
	ds_load_b32 v14, v8
	ds_load_b64 v[16:17], v10
	v_add_co_u32 v18, vcc_lo, s28, v11
	v_add_nc_u32_e32 v13, s12, v13
	s_wait_alu 0xfffd
	v_add_co_ci_u32_e64 v19, null, s29, v12, vcc_lo
	v_add_co_u32 v20, vcc_lo, s30, v11
	s_wait_alu 0xfffd
	v_add_co_ci_u32_e64 v21, null, s31, v12, vcc_lo
	v_add_co_u32 v11, vcc_lo, v11, s22
	s_wait_alu 0xfffd
	v_add_co_ci_u32_e64 v12, null, s23, v12, vcc_lo
	v_cmp_le_i32_e32 vcc_lo, s9, v13
	ds_store_b64 v10, v[5:6]
	ds_store_b32 v8, v5
	v_add_nc_u32_e32 v10, s38, v10
	v_add_nc_u32_e32 v8, s39, v8
	s_wait_alu 0xfffe
	s_or_b32 s3, vcc_lo, s3
	s_wait_dscnt 0x3
	v_ashrrev_i32_e32 v15, 31, v14
	s_wait_dscnt 0x2
	global_store_b64 v[18:19], v[16:17], off
	global_store_b64 v[20:21], v[14:15], off
	s_wait_alu 0xfffe
	s_and_not1_b32 exec_lo, exec_lo, s3
	s_cbranch_execnz .LBB0_73
	s_branch .LBB0_8
.LBB0_74:
	s_endpgm
	.section	.rodata,"a",@progbits
	.p2align	6, 0x0
	.amdhsa_kernel _ZN2at6native12_GLOBAL__N_121max_pool_forward_nhwcIdiEEvPKT_iT0_S6_S6_S6_S6_iiiiiiiiS6_S6_S6_S6_iiPS3_Pl
		.amdhsa_group_segment_fixed_size 0
		.amdhsa_private_segment_fixed_size 0
		.amdhsa_kernarg_size 360
		.amdhsa_user_sgpr_count 2
		.amdhsa_user_sgpr_dispatch_ptr 0
		.amdhsa_user_sgpr_queue_ptr 0
		.amdhsa_user_sgpr_kernarg_segment_ptr 1
		.amdhsa_user_sgpr_dispatch_id 0
		.amdhsa_user_sgpr_private_segment_size 0
		.amdhsa_wavefront_size32 1
		.amdhsa_uses_dynamic_stack 0
		.amdhsa_enable_private_segment 0
		.amdhsa_system_sgpr_workgroup_id_x 1
		.amdhsa_system_sgpr_workgroup_id_y 1
		.amdhsa_system_sgpr_workgroup_id_z 1
		.amdhsa_system_sgpr_workgroup_info 0
		.amdhsa_system_vgpr_workitem_id 2
		.amdhsa_next_free_vgpr 51
		.amdhsa_next_free_sgpr 50
		.amdhsa_reserve_vcc 1
		.amdhsa_float_round_mode_32 0
		.amdhsa_float_round_mode_16_64 0
		.amdhsa_float_denorm_mode_32 3
		.amdhsa_float_denorm_mode_16_64 3
		.amdhsa_fp16_overflow 0
		.amdhsa_workgroup_processor_mode 1
		.amdhsa_memory_ordered 1
		.amdhsa_forward_progress 1
		.amdhsa_inst_pref_size 31
		.amdhsa_round_robin_scheduling 0
		.amdhsa_exception_fp_ieee_invalid_op 0
		.amdhsa_exception_fp_denorm_src 0
		.amdhsa_exception_fp_ieee_div_zero 0
		.amdhsa_exception_fp_ieee_overflow 0
		.amdhsa_exception_fp_ieee_underflow 0
		.amdhsa_exception_fp_ieee_inexact 0
		.amdhsa_exception_int_div_zero 0
	.end_amdhsa_kernel
	.section	.text._ZN2at6native12_GLOBAL__N_121max_pool_forward_nhwcIdiEEvPKT_iT0_S6_S6_S6_S6_iiiiiiiiS6_S6_S6_S6_iiPS3_Pl,"axG",@progbits,_ZN2at6native12_GLOBAL__N_121max_pool_forward_nhwcIdiEEvPKT_iT0_S6_S6_S6_S6_iiiiiiiiS6_S6_S6_S6_iiPS3_Pl,comdat
.Lfunc_end0:
	.size	_ZN2at6native12_GLOBAL__N_121max_pool_forward_nhwcIdiEEvPKT_iT0_S6_S6_S6_S6_iiiiiiiiS6_S6_S6_S6_iiPS3_Pl, .Lfunc_end0-_ZN2at6native12_GLOBAL__N_121max_pool_forward_nhwcIdiEEvPKT_iT0_S6_S6_S6_S6_iiiiiiiiS6_S6_S6_S6_iiPS3_Pl
                                        ; -- End function
	.set _ZN2at6native12_GLOBAL__N_121max_pool_forward_nhwcIdiEEvPKT_iT0_S6_S6_S6_S6_iiiiiiiiS6_S6_S6_S6_iiPS3_Pl.num_vgpr, 51
	.set _ZN2at6native12_GLOBAL__N_121max_pool_forward_nhwcIdiEEvPKT_iT0_S6_S6_S6_S6_iiiiiiiiS6_S6_S6_S6_iiPS3_Pl.num_agpr, 0
	.set _ZN2at6native12_GLOBAL__N_121max_pool_forward_nhwcIdiEEvPKT_iT0_S6_S6_S6_S6_iiiiiiiiS6_S6_S6_S6_iiPS3_Pl.numbered_sgpr, 50
	.set _ZN2at6native12_GLOBAL__N_121max_pool_forward_nhwcIdiEEvPKT_iT0_S6_S6_S6_S6_iiiiiiiiS6_S6_S6_S6_iiPS3_Pl.num_named_barrier, 0
	.set _ZN2at6native12_GLOBAL__N_121max_pool_forward_nhwcIdiEEvPKT_iT0_S6_S6_S6_S6_iiiiiiiiS6_S6_S6_S6_iiPS3_Pl.private_seg_size, 0
	.set _ZN2at6native12_GLOBAL__N_121max_pool_forward_nhwcIdiEEvPKT_iT0_S6_S6_S6_S6_iiiiiiiiS6_S6_S6_S6_iiPS3_Pl.uses_vcc, 1
	.set _ZN2at6native12_GLOBAL__N_121max_pool_forward_nhwcIdiEEvPKT_iT0_S6_S6_S6_S6_iiiiiiiiS6_S6_S6_S6_iiPS3_Pl.uses_flat_scratch, 0
	.set _ZN2at6native12_GLOBAL__N_121max_pool_forward_nhwcIdiEEvPKT_iT0_S6_S6_S6_S6_iiiiiiiiS6_S6_S6_S6_iiPS3_Pl.has_dyn_sized_stack, 0
	.set _ZN2at6native12_GLOBAL__N_121max_pool_forward_nhwcIdiEEvPKT_iT0_S6_S6_S6_S6_iiiiiiiiS6_S6_S6_S6_iiPS3_Pl.has_recursion, 0
	.set _ZN2at6native12_GLOBAL__N_121max_pool_forward_nhwcIdiEEvPKT_iT0_S6_S6_S6_S6_iiiiiiiiS6_S6_S6_S6_iiPS3_Pl.has_indirect_call, 0
	.section	.AMDGPU.csdata,"",@progbits
; Kernel info:
; codeLenInByte = 3868
; TotalNumSgprs: 52
; NumVgprs: 51
; ScratchSize: 0
; MemoryBound: 0
; FloatMode: 240
; IeeeMode: 1
; LDSByteSize: 0 bytes/workgroup (compile time only)
; SGPRBlocks: 0
; VGPRBlocks: 6
; NumSGPRsForWavesPerEU: 52
; NumVGPRsForWavesPerEU: 51
; Occupancy: 16
; WaveLimiterHint : 1
; COMPUTE_PGM_RSRC2:SCRATCH_EN: 0
; COMPUTE_PGM_RSRC2:USER_SGPR: 2
; COMPUTE_PGM_RSRC2:TRAP_HANDLER: 0
; COMPUTE_PGM_RSRC2:TGID_X_EN: 1
; COMPUTE_PGM_RSRC2:TGID_Y_EN: 1
; COMPUTE_PGM_RSRC2:TGID_Z_EN: 1
; COMPUTE_PGM_RSRC2:TIDIG_COMP_CNT: 2
	.section	.text._ZN2at6native12_GLOBAL__N_121max_pool_forward_nhwcIdlEEvPKT_iT0_S6_S6_S6_S6_iiiiiiiiS6_S6_S6_S6_iiPS3_Pl,"axG",@progbits,_ZN2at6native12_GLOBAL__N_121max_pool_forward_nhwcIdlEEvPKT_iT0_S6_S6_S6_S6_iiiiiiiiS6_S6_S6_S6_iiPS3_Pl,comdat
	.globl	_ZN2at6native12_GLOBAL__N_121max_pool_forward_nhwcIdlEEvPKT_iT0_S6_S6_S6_S6_iiiiiiiiS6_S6_S6_S6_iiPS3_Pl ; -- Begin function _ZN2at6native12_GLOBAL__N_121max_pool_forward_nhwcIdlEEvPKT_iT0_S6_S6_S6_S6_iiiiiiiiS6_S6_S6_S6_iiPS3_Pl
	.p2align	8
	.type	_ZN2at6native12_GLOBAL__N_121max_pool_forward_nhwcIdlEEvPKT_iT0_S6_S6_S6_S6_iiiiiiiiS6_S6_S6_S6_iiPS3_Pl,@function
_ZN2at6native12_GLOBAL__N_121max_pool_forward_nhwcIdlEEvPKT_iT0_S6_S6_S6_S6_iiiiiiiiS6_S6_S6_S6_iiPS3_Pl: ; @_ZN2at6native12_GLOBAL__N_121max_pool_forward_nhwcIdlEEvPKT_iT0_S6_S6_S6_S6_iiiiiiiiS6_S6_S6_S6_iiPS3_Pl
; %bb.0:
	s_clause 0x1
	s_load_b128 s[4:7], s[0:1], 0x94
	s_load_b64 s[2:3], s[0:1], 0x78
	v_bfe_u32 v2, v0, 10, 10
	v_bfe_u32 v1, v0, 20, 10
	v_and_b32_e32 v6, 0x3ff, v0
	s_mov_b32 s8, exec_lo
	s_wait_kmcnt 0x0
	s_lshr_b32 s33, s6, 16
	s_and_b32 s6, s6, 0xffff
	v_mad_u32_u24 v9, v1, s33, v2
	s_mul_i32 s28, s3, s6
	s_and_b32 s52, s7, 0xffff
	s_mul_i32 s7, s28, s33
	s_delay_alu instid0(SALU_CYCLE_1) | instskip(SKIP_1) | instid1(VALU_DEP_1)
	s_mul_i32 s7, s7, s52
	v_mad_co_u64_u32 v[3:4], null, v9, s6, v[6:7]
	v_cmpx_gt_u32_e64 s7, v3
	s_cbranch_execz .LBB1_3
; %bb.1:
	v_dual_mov_b32 v4, 0 :: v_dual_mov_b32 v5, 0xfff00000
	s_mul_i32 s9, s33, s6
	v_lshl_add_u32 v0, v3, 3, 0
	s_mul_i32 s9, s9, s52
	s_delay_alu instid0(VALU_DEP_2)
	v_dual_mov_b32 v7, v4 :: v_dual_mov_b32 v8, v4
	s_lshl_b32 s10, s7, 3
	s_mov_b32 s11, 0
	s_lshl_b32 s12, s9, 3
.LBB1_2:                                ; =>This Inner Loop Header: Depth=1
	v_add_nc_u32_e32 v3, s9, v3
	v_add_nc_u32_e32 v10, s10, v0
	ds_store_b64 v0, v[7:8]
	v_add_nc_u32_e32 v0, s12, v0
	v_cmp_le_u32_e32 vcc_lo, s7, v3
	ds_store_b64 v10, v[4:5]
	s_or_b32 s11, vcc_lo, s11
	s_wait_alu 0xfffe
	s_and_not1_b32 exec_lo, exec_lo, s11
	s_cbranch_execnz .LBB1_2
.LBB1_3:
	s_or_b32 exec_lo, exec_lo, s8
	s_cvt_f32_u32 s8, s5
	s_load_b256 s[12:19], s[0:1], 0x10
	s_sub_co_i32 s9, 0, s5
	s_load_b32 s29, s[0:1], 0x8
	v_rcp_iflag_f32_e32 v0, s8
	s_wait_dscnt 0x0
	s_barrier_signal -1
	s_barrier_wait -1
	global_inv scope:SCOPE_SE
	v_readfirstlane_b32 s8, v0
	s_mul_f32 s8, s8, 0x4f7ffffe
	s_wait_kmcnt 0x0
	s_add_co_i32 s10, s18, s5
	s_wait_alu 0xfffe
	s_add_co_i32 s10, s10, -1
	s_cvt_u32_f32 s8, s8
	s_wait_alu 0xfffe
	s_delay_alu instid0(SALU_CYCLE_2)
	s_mul_i32 s9, s9, s8
	s_wait_alu 0xfffe
	s_mul_hi_u32 s9, s8, s9
	s_wait_alu 0xfffe
	s_add_co_i32 s8, s8, s9
	s_wait_alu 0xfffe
	s_mul_hi_u32 s8, s10, s8
	s_wait_alu 0xfffe
	s_mul_i32 s9, s8, s5
	s_wait_alu 0xfffe
	s_sub_co_i32 s9, s10, s9
	s_add_co_i32 s10, s8, 1
	s_wait_alu 0xfffe
	s_sub_co_i32 s11, s9, s5
	s_cmp_ge_u32 s9, s5
	s_cselect_b32 s8, s10, s8
	s_wait_alu 0xfffe
	s_cselect_b32 s9, s11, s9
	s_add_co_i32 s10, s8, 1
	s_wait_alu 0xfffe
	s_cmp_ge_u32 s9, s5
	s_cvt_f32_u32 s9, s4
	s_cselect_b32 s5, s10, s8
	s_lshr_b32 s8, ttmp7, 16
	s_wait_alu 0xfffe
	v_mad_co_u64_u32 v[0:1], null, s5, s8, v[1:2]
	s_cvt_f32_u32 s8, s29
	v_rcp_iflag_f32_e32 v3, s9
	s_mov_b32 s9, 0
	s_wait_alu 0xfffe
	v_rcp_iflag_f32_e32 v1, s8
	s_mov_b32 s8, exec_lo
	v_add_nc_u32_e32 v4, s5, v0
	s_delay_alu instid0(TRANS32_DEP_2) | instskip(NEXT) | instid1(VALU_DEP_2)
	v_readfirstlane_b32 s5, v3
	v_min_i32_e32 v50, s18, v4
	s_delay_alu instid0(TRANS32_DEP_1) | instskip(NEXT) | instid1(VALU_DEP_2)
	v_readfirstlane_b32 s20, v1
	v_cmpx_lt_i32_e64 v0, v50
	s_cbranch_execz .LBB1_78
; %bb.4:
	s_load_b64 s[10:11], s[0:1], 0x30
	s_mul_f32 s20, s20, 0x4f7ffffe
	s_mul_f32 s5, s5, 0x4f7ffffe
	s_sub_co_i32 s30, 0, s29
	s_sub_co_i32 s35, 0, s4
	s_cvt_u32_f32 s34, s20
	s_wait_alu 0xfffe
	s_cvt_u32_f32 s5, s5
	s_mov_b32 s8, ttmp9
	s_mov_b32 s31, s9
	s_mul_i32 s30, s30, s34
	s_wait_alu 0xfffe
	s_mul_i32 s35, s35, s5
	s_mul_hi_u32 s30, s34, s30
	s_load_b256 s[20:27], s[0:1], 0x58
	s_add_co_i32 s30, s34, s30
	s_lshl_b32 s7, s7, 3
	s_mul_u64 s[30:31], s[8:9], s[30:31]
	s_mul_hi_u32 s8, s5, s35
	s_load_b64 s[34:35], s[0:1], 0x0
	s_add_co_i32 s30, s5, s8
	s_mul_i32 s36, s31, s29
	s_wait_kmcnt 0x0
	s_add_co_i32 s5, s10, s4
	s_and_b32 s44, ttmp7, 0xffff
	s_wait_alu 0xfffe
	s_add_co_i32 s8, s5, -1
	s_sub_co_i32 s5, ttmp9, s36
	s_add_co_i32 s48, s7, 0
	s_add_co_i32 s7, s31, 1
	s_wait_alu 0xfffe
	s_sub_co_i32 s36, s5, s29
	s_cmp_ge_u32 s5, s29
	v_mul_lo_u32 v4, s28, v9
	s_cselect_b32 s7, s7, s31
	s_cselect_b32 s5, s36, s5
	s_wait_alu 0xfffe
	s_add_co_i32 s31, s7, 1
	s_cmp_ge_u32 s5, s29
	s_load_b256 s[36:43], s[0:1], 0x38
	s_cselect_b32 s5, s31, s7
	s_mov_b32 s31, s9
	s_wait_alu 0xfffe
	s_mul_i32 s7, s5, s29
	s_mul_u64 s[30:31], s[8:9], s[30:31]
	s_wait_alu 0xfffe
	s_sub_co_i32 s50, ttmp9, s7
	s_mul_i32 s7, s31, s4
	s_ashr_i32 s51, s50, 31
	s_wait_alu 0xfffe
	s_sub_co_i32 s7, s8, s7
	s_mul_u64 s[20:21], s[20:21], s[50:51]
	s_add_co_i32 s8, s31, 1
	s_lshl_b64 s[20:21], s[20:21], 3
	s_wait_alu 0xfffe
	s_sub_co_i32 s29, s7, s4
	s_cmp_ge_u32 s7, s4
	v_lshlrev_b32_e32 v10, 3, v4
	s_cselect_b32 s8, s8, s31
	s_wait_alu 0xfffe
	s_cselect_b32 s7, s29, s7
	s_add_co_i32 s29, s8, 1
	s_wait_alu 0xfffe
	s_cmp_ge_u32 s7, s4
	s_add_nc_u64 s[20:21], s[34:35], s[20:21]
	s_cselect_b32 s4, s29, s8
	s_load_b128 s[28:31], s[0:1], 0x80
	v_mad_co_u64_u32 v[1:2], null, s4, s44, v[2:3]
	v_mad_co_u64_u32 v[2:3], null, s5, s6, v[6:7]
	s_wait_kmcnt 0x0
	s_add_co_i32 s0, s36, -1
	s_add_co_i32 s1, s37, -1
	s_mul_i32 s0, s42, s0
	s_mul_i32 s1, s43, s1
	s_delay_alu instid0(VALU_DEP_2)
	v_add_nc_u32_e32 v4, s4, v1
	s_mul_i32 s8, s2, s6
	v_ashrrev_i32_e32 v3, 31, v2
	v_mul_lo_u32 v8, s23, v2
	s_mov_b32 s53, s40
	v_min_i32_e32 v51, s10, v4
	v_mad_co_u64_u32 v[4:5], null, s22, v2, 0
	v_mul_lo_u32 v7, s22, v3
	s_ashr_i32 s54, s40, 31
	s_add_co_i32 s55, s0, 1
	s_ashr_i32 s35, s41, 31
	s_add_co_i32 s57, s1, 1
	s_mov_b32 s34, s41
	s_ashr_i32 s41, s42, 31
	s_mov_b32 s40, s42
	v_add3_u32 v5, v5, v7, v8
	s_max_i32 s1, s36, s37
	s_wait_alu 0xfffe
	v_cmp_le_i64_e64 s4, s[12:13], s[8:9]
	s_ashr_i32 s56, s55, 31
	s_ashr_i32 s58, s57, 31
	v_lshlrev_b64_e32 v[7:8], 3, v[4:5]
	s_ashr_i32 s37, s43, 31
	v_cmp_gt_u64_e64 s8, s[40:41], 1
	s_cmp_lt_i32 s1, 4
	v_lshlrev_b32_e32 v6, 3, v6
	s_cselect_b32 s1, -1, 0
	v_add_co_u32 v52, vcc_lo, s20, v7
	s_delay_alu instid0(VALU_DEP_1)
	v_add_co_ci_u32_e64 v53, null, s21, v8, vcc_lo
	v_mul_lo_u32 v8, s3, v9
	v_lshlrev_b32_e32 v7, 3, v9
	s_and_b32 s59, s1, s4
	s_ashr_i32 s5, s2, 31
	s_and_b32 s8, s8, exec_lo
	s_cselect_b32 s46, s42, 1
	s_mul_i32 s8, s33, s52
	v_cvt_f32_u32_e32 v9, s46
	v_mul_lo_u32 v8, v8, s6
	v_add_nc_u32_e32 v54, 0, v6
	v_add3_u32 v55, s48, v10, v6
	s_mov_b32 s36, s43
	s_mov_b32 s7, s9
	;; [unrolled: 1-line block ×3, first 2 shown]
	s_add_nc_u64 s[48:49], s[34:35], s[36:37]
	s_wait_alu 0xfffe
	s_mul_u64 s[44:45], s[6:7], s[4:5]
	v_lshlrev_b32_e32 v58, 3, v8
	v_mov_b32_e32 v8, 0
	v_lshl_add_u32 v7, s8, 3, v7
	s_mul_u64 s[4:5], s[22:23], s[4:5]
	v_cmp_le_i64_e64 s1, s[12:13], v[2:3]
	v_cmp_gt_i64_e64 s2, s[12:13], v[2:3]
	s_sub_nc_u64 s[22:23], 0, s[48:49]
	v_mul_lo_u32 v6, s3, v7
	v_rcp_iflag_f32_e32 v7, v9
	s_wait_alu 0xfffe
	s_mul_u64 s[48:49], s[4:5], s[6:7]
	s_mul_u64 s[4:5], s[10:11], s[18:19]
	v_cmp_lt_i32_e64 s0, v1, v51
	s_wait_alu 0xfffe
	s_mul_u64 s[4:5], s[4:5], s[50:51]
	s_cselect_b32 s47, s41, 0
	s_lshl_b32 s60, s6, 3
	v_mul_lo_u32 v57, v6, s6
	s_wait_alu 0xfffe
	s_lshl_b64 s[18:19], s[4:5], 3
	s_lshl_b64 s[50:51], s[44:45], 3
	v_mul_f32_e32 v9, 0x4f7ffffe, v7
	v_lshlrev_b64_e32 v[6:7], 3, v[2:3]
	v_add_nc_u32_e32 v56, v54, v10
	s_mov_b32 s61, 0
	s_delay_alu instid0(VALU_DEP_3)
	v_cvt_u32_f32_e32 v59, v9
	v_mov_b32_e32 v9, 0xfff00000
	s_branch .LBB1_6
.LBB1_5:                                ;   in Loop: Header=BB1_6 Depth=1
	s_or_b32 exec_lo, exec_lo, s62
	v_add_nc_u32_e32 v0, s52, v0
	s_delay_alu instid0(VALU_DEP_1)
	v_cmp_ge_i32_e32 vcc_lo, v0, v50
	s_or_b32 s61, vcc_lo, s61
	s_wait_alu 0xfffe
	s_and_not1_b32 exec_lo, exec_lo, s61
	s_cbranch_execz .LBB1_78
.LBB1_6:                                ; =>This Loop Header: Depth=1
                                        ;     Child Loop BB1_9 Depth 2
                                        ;       Child Loop BB1_14 Depth 3
                                        ;       Child Loop BB1_67 Depth 3
                                        ;         Child Loop BB1_70 Depth 4
                                        ;           Child Loop BB1_73 Depth 5
                                        ;       Child Loop BB1_77 Depth 3
	s_and_saveexec_b32 s62, s0
	s_cbranch_execz .LBB1_5
; %bb.7:                                ;   in Loop: Header=BB1_6 Depth=1
	v_mad_co_i64_i32 v[10:11], null, v0, s38, 0
	v_ashrrev_i32_e32 v16, 31, v0
	v_mul_lo_u32 v17, s11, v0
	v_mad_co_u64_u32 v[12:13], null, s10, v0, 0
	s_mov_b32 s63, 0
	v_mul_lo_u32 v16, s10, v16
	v_sub_co_u32 v10, vcc_lo, v10, s53
	s_wait_alu 0xfffd
	v_subrev_co_ci_u32_e64 v11, null, s54, v11, vcc_lo
	v_mov_b32_e32 v60, v1
	s_delay_alu instid0(VALU_DEP_3) | instskip(SKIP_1) | instid1(VALU_DEP_3)
	v_add_co_u32 v14, vcc_lo, v10, s55
	s_wait_alu 0xfffd
	v_add_co_ci_u32_e64 v15, null, s56, v11, vcc_lo
	v_add3_u32 v13, v13, v16, v17
	s_delay_alu instid0(VALU_DEP_2)
	v_cmp_gt_i64_e32 vcc_lo, s[14:15], v[14:15]
	s_wait_alu 0xfffd
	v_cndmask_b32_e32 v15, s15, v15, vcc_lo
	v_cndmask_b32_e32 v14, s14, v14, vcc_lo
	s_branch .LBB1_9
.LBB1_8:                                ;   in Loop: Header=BB1_9 Depth=2
	s_wait_alu 0xfffe
	s_or_b32 exec_lo, exec_lo, s4
	v_add_nc_u32_e32 v60, s33, v60
	s_delay_alu instid0(VALU_DEP_1) | instskip(SKIP_1) | instid1(SALU_CYCLE_1)
	v_cmp_ge_i32_e32 vcc_lo, v60, v51
	s_or_b32 s63, vcc_lo, s63
	s_and_not1_b32 exec_lo, exec_lo, s63
	s_cbranch_execz .LBB1_5
.LBB1_9:                                ;   Parent Loop BB1_6 Depth=1
                                        ; =>  This Loop Header: Depth=2
                                        ;       Child Loop BB1_14 Depth 3
                                        ;       Child Loop BB1_67 Depth 3
                                        ;         Child Loop BB1_70 Depth 4
                                        ;           Child Loop BB1_73 Depth 5
                                        ;       Child Loop BB1_77 Depth 3
	v_cmp_lt_i64_e32 vcc_lo, 0, v[10:11]
	v_lshrrev_b32_e32 v22, 31, v11
	s_wait_alu 0xfffd
	v_dual_cndmask_b32 v17, 0, v11 :: v_dual_cndmask_b32 v16, 0, v10
	s_delay_alu instid0(VALU_DEP_2) | instskip(SKIP_2) | instid1(VALU_DEP_2)
	v_add_co_u32 v18, vcc_lo, v10, v22
	s_wait_alu 0xfffd
	v_add_co_ci_u32_e64 v19, null, 0, v11, vcc_lo
	v_sub_co_u32 v16, vcc_lo, v16, v18
	s_wait_alu 0xfffd
	s_delay_alu instid0(VALU_DEP_2) | instskip(SKIP_1) | instid1(VALU_DEP_2)
	v_sub_co_ci_u32_e64 v17, null, v17, v19, vcc_lo
	v_mov_b32_e32 v18, v8
	v_or_b32_e32 v19, s47, v17
	s_delay_alu instid0(VALU_DEP_1)
	v_cmp_ne_u64_e32 vcc_lo, 0, v[18:19]
                                        ; implicit-def: $vgpr18_vgpr19
	s_and_saveexec_b32 s3, vcc_lo
	s_wait_alu 0xfffe
	s_xor_b32 s4, exec_lo, s3
	s_cbranch_execz .LBB1_11
; %bb.10:                               ;   in Loop: Header=BB1_9 Depth=2
	s_cvt_f32_u32 s3, s46
	s_cvt_f32_u32 s5, s47
	s_sub_nc_u64 s[64:65], 0, s[46:47]
	s_wait_alu 0xfffe
	s_delay_alu instid0(SALU_CYCLE_1) | instskip(SKIP_1) | instid1(SALU_CYCLE_2)
	s_fmamk_f32 s3, s5, 0x4f800000, s3
	s_wait_alu 0xfffe
	v_s_rcp_f32 s3, s3
	s_delay_alu instid0(TRANS32_DEP_1) | instskip(SKIP_1) | instid1(SALU_CYCLE_2)
	s_mul_f32 s3, s3, 0x5f7ffffc
	s_wait_alu 0xfffe
	s_mul_f32 s5, s3, 0x2f800000
	s_wait_alu 0xfffe
	s_delay_alu instid0(SALU_CYCLE_2) | instskip(SKIP_1) | instid1(SALU_CYCLE_2)
	s_trunc_f32 s5, s5
	s_wait_alu 0xfffe
	s_fmamk_f32 s3, s5, 0xcf800000, s3
	s_cvt_u32_f32 s7, s5
	s_wait_alu 0xfffe
	s_delay_alu instid0(SALU_CYCLE_1) | instskip(SKIP_1) | instid1(SALU_CYCLE_2)
	s_cvt_u32_f32 s6, s3
	s_wait_alu 0xfffe
	s_mul_u64 s[66:67], s[64:65], s[6:7]
	s_delay_alu instid0(SALU_CYCLE_1)
	s_mul_hi_u32 s69, s6, s67
	s_mul_i32 s68, s6, s67
	s_mul_hi_u32 s8, s6, s66
	s_mul_i32 s5, s7, s66
	s_wait_alu 0xfffe
	s_add_nc_u64 s[68:69], s[8:9], s[68:69]
	s_mul_hi_u32 s3, s7, s66
	s_mul_hi_u32 s70, s7, s67
	s_add_co_u32 s5, s68, s5
	s_wait_alu 0xfffe
	s_add_co_ci_u32 s8, s69, s3
	s_mul_i32 s66, s7, s67
	s_add_co_ci_u32 s67, s70, 0
	s_wait_alu 0xfffe
	s_add_nc_u64 s[66:67], s[8:9], s[66:67]
	s_delay_alu instid0(SALU_CYCLE_1)
	s_add_co_u32 s6, s6, s66
	s_cselect_b32 s3, -1, 0
	s_wait_alu 0xfffe
	s_cmp_lg_u32 s3, 0
	s_add_co_ci_u32 s7, s7, s67
	s_wait_alu 0xfffe
	s_mul_u64 s[64:65], s[64:65], s[6:7]
	s_delay_alu instid0(SALU_CYCLE_1)
	s_mul_hi_u32 s67, s6, s65
	s_mul_i32 s66, s6, s65
	s_mul_hi_u32 s8, s6, s64
	s_mul_i32 s5, s7, s64
	s_wait_alu 0xfffe
	s_add_nc_u64 s[66:67], s[8:9], s[66:67]
	s_mul_hi_u32 s3, s7, s64
	s_mul_hi_u32 s68, s7, s65
	s_add_co_u32 s5, s66, s5
	s_wait_alu 0xfffe
	s_add_co_ci_u32 s8, s67, s3
	s_mul_i32 s64, s7, s65
	s_add_co_ci_u32 s65, s68, 0
	s_wait_alu 0xfffe
	s_add_nc_u64 s[64:65], s[8:9], s[64:65]
	s_delay_alu instid0(SALU_CYCLE_1)
	s_add_co_u32 s3, s6, s64
	s_cselect_b32 s5, -1, 0
	s_wait_alu 0xfffe
	v_mul_hi_u32 v25, v16, s3
	s_cmp_lg_u32 s5, 0
	v_mad_co_u64_u32 v[20:21], null, v17, s3, 0
	s_add_co_ci_u32 s5, s7, s65
	s_wait_alu 0xfffe
	v_mad_co_u64_u32 v[18:19], null, v16, s5, 0
	v_mad_co_u64_u32 v[23:24], null, v17, s5, 0
	s_delay_alu instid0(VALU_DEP_2) | instskip(SKIP_1) | instid1(VALU_DEP_3)
	v_add_co_u32 v18, vcc_lo, v25, v18
	s_wait_alu 0xfffd
	v_add_co_ci_u32_e64 v19, null, 0, v19, vcc_lo
	s_delay_alu instid0(VALU_DEP_2) | instskip(SKIP_1) | instid1(VALU_DEP_2)
	v_add_co_u32 v18, vcc_lo, v18, v20
	s_wait_alu 0xfffd
	v_add_co_ci_u32_e32 v18, vcc_lo, v19, v21, vcc_lo
	s_wait_alu 0xfffd
	v_add_co_ci_u32_e32 v19, vcc_lo, 0, v24, vcc_lo
	s_delay_alu instid0(VALU_DEP_2) | instskip(SKIP_1) | instid1(VALU_DEP_2)
	v_add_co_u32 v20, vcc_lo, v18, v23
	s_wait_alu 0xfffd
	v_add_co_ci_u32_e64 v21, null, 0, v19, vcc_lo
	s_delay_alu instid0(VALU_DEP_2) | instskip(SKIP_1) | instid1(VALU_DEP_3)
	v_mul_lo_u32 v23, s47, v20
	v_mad_co_u64_u32 v[18:19], null, s46, v20, 0
	v_mul_lo_u32 v24, s46, v21
	s_delay_alu instid0(VALU_DEP_2) | instskip(NEXT) | instid1(VALU_DEP_2)
	v_sub_co_u32 v16, vcc_lo, v16, v18
	v_add3_u32 v19, v19, v24, v23
	s_delay_alu instid0(VALU_DEP_1) | instskip(SKIP_2) | instid1(VALU_DEP_2)
	v_sub_nc_u32_e32 v23, v17, v19
	s_wait_alu 0xfffd
	v_sub_co_ci_u32_e64 v17, null, v17, v19, vcc_lo
	v_subrev_co_ci_u32_e64 v18, null, s47, v23, vcc_lo
	v_add_co_u32 v23, s3, v20, 2
	s_wait_alu 0xf1ff
	v_add_co_ci_u32_e64 v24, null, 0, v21, s3
	v_sub_co_u32 v25, s3, v16, s46
	s_wait_alu 0xf1ff
	v_subrev_co_ci_u32_e64 v18, null, 0, v18, s3
	v_cmp_eq_u32_e64 s3, s47, v17
	s_delay_alu instid0(VALU_DEP_3)
	v_cmp_le_u32_e32 vcc_lo, s46, v25
	s_wait_alu 0xfffd
	v_cndmask_b32_e64 v19, 0, -1, vcc_lo
	v_cmp_le_u32_e32 vcc_lo, s47, v18
	s_wait_alu 0xfffd
	v_cndmask_b32_e64 v25, 0, -1, vcc_lo
	;; [unrolled: 3-line block ×4, first 2 shown]
	v_cmp_eq_u32_e32 vcc_lo, s47, v18
	s_wait_alu 0xf1ff
	s_delay_alu instid0(VALU_DEP_2)
	v_cndmask_b32_e64 v16, v26, v16, s3
	s_wait_alu 0xfffd
	v_cndmask_b32_e32 v18, v25, v19, vcc_lo
	v_add_co_u32 v19, vcc_lo, v20, 1
	s_wait_alu 0xfffd
	v_add_co_ci_u32_e64 v25, null, 0, v21, vcc_lo
	s_delay_alu instid0(VALU_DEP_3) | instskip(SKIP_1) | instid1(VALU_DEP_2)
	v_cmp_ne_u32_e32 vcc_lo, 0, v18
	s_wait_alu 0xfffd
	v_dual_cndmask_b32 v17, v25, v24 :: v_dual_cndmask_b32 v18, v19, v23
	v_cmp_ne_u32_e32 vcc_lo, 0, v16
                                        ; implicit-def: $vgpr16
	s_wait_alu 0xfffd
	s_delay_alu instid0(VALU_DEP_2)
	v_dual_cndmask_b32 v19, v21, v17 :: v_dual_cndmask_b32 v18, v20, v18
.LBB1_11:                               ;   in Loop: Header=BB1_9 Depth=2
	s_wait_alu 0xfffe
	s_and_not1_saveexec_b32 s3, s4
	s_cbranch_execz .LBB1_13
; %bb.12:                               ;   in Loop: Header=BB1_9 Depth=2
	s_sub_co_i32 s4, 0, s46
	s_wait_alu 0xfffe
	v_mul_lo_u32 v17, s4, v59
	s_delay_alu instid0(VALU_DEP_1) | instskip(NEXT) | instid1(VALU_DEP_1)
	v_mul_hi_u32 v17, v59, v17
	v_add_nc_u32_e32 v17, v59, v17
	s_delay_alu instid0(VALU_DEP_1) | instskip(NEXT) | instid1(VALU_DEP_1)
	v_mul_hi_u32 v17, v16, v17
	v_mul_lo_u32 v18, v17, s46
	s_delay_alu instid0(VALU_DEP_1) | instskip(SKIP_1) | instid1(VALU_DEP_2)
	v_sub_nc_u32_e32 v16, v16, v18
	v_add_nc_u32_e32 v18, 1, v17
	v_subrev_nc_u32_e32 v19, s46, v16
	v_cmp_le_u32_e32 vcc_lo, s46, v16
	s_wait_alu 0xfffd
	s_delay_alu instid0(VALU_DEP_2) | instskip(SKIP_2) | instid1(VALU_DEP_3)
	v_cndmask_b32_e32 v16, v16, v19, vcc_lo
	v_mov_b32_e32 v19, v8
	v_cndmask_b32_e32 v17, v17, v18, vcc_lo
	v_cmp_le_u32_e32 vcc_lo, s46, v16
	s_delay_alu instid0(VALU_DEP_2) | instskip(SKIP_1) | instid1(VALU_DEP_1)
	v_add_nc_u32_e32 v18, 1, v17
	s_wait_alu 0xfffd
	v_cndmask_b32_e32 v18, v17, v18, vcc_lo
.LBB1_13:                               ;   in Loop: Header=BB1_9 Depth=2
	s_wait_alu 0xfffe
	s_or_b32 exec_lo, exec_lo, s3
	v_mad_co_i64_i32 v[20:21], null, s39, v60, 0
	v_ashrrev_i32_e32 v61, 31, v60
	s_mov_b32 s3, 0
	s_delay_alu instid0(VALU_DEP_2) | instskip(SKIP_1) | instid1(VALU_DEP_3)
	v_add_co_u32 v16, vcc_lo, s22, v20
	s_wait_alu 0xfffd
	v_add_co_ci_u32_e64 v17, null, s23, v21, vcc_lo
.LBB1_14:                               ;   Parent Loop BB1_6 Depth=1
                                        ;     Parent Loop BB1_9 Depth=2
                                        ; =>    This Inner Loop Header: Depth=3
	s_delay_alu instid0(VALU_DEP_2) | instskip(SKIP_1) | instid1(VALU_DEP_2)
	v_add_co_u32 v16, vcc_lo, v16, s36
	s_wait_alu 0xfffd
	v_add_co_ci_u32_e64 v17, null, s37, v17, vcc_lo
	s_delay_alu instid0(VALU_DEP_1)
	v_cmp_lt_i64_e32 vcc_lo, -1, v[16:17]
	s_wait_alu 0xfffe
	s_or_b32 s3, vcc_lo, s3
	s_wait_alu 0xfffe
	s_and_not1_b32 exec_lo, exec_lo, s3
	s_cbranch_execnz .LBB1_14
; %bb.15:                               ;   in Loop: Header=BB1_9 Depth=2
	s_or_b32 exec_lo, exec_lo, s3
	v_sub_co_u32 v20, vcc_lo, v20, s34
	s_wait_alu 0xfffd
	v_subrev_co_ci_u32_e64 v21, null, s35, v21, vcc_lo
	v_add_co_u32 v22, vcc_lo, v22, v18
	s_wait_alu 0xfffd
	v_add_co_ci_u32_e64 v23, null, 0, v19, vcc_lo
	v_add_co_u32 v18, vcc_lo, v20, s57
	s_wait_alu 0xfffd
	v_add_co_ci_u32_e64 v19, null, s58, v21, vcc_lo
	v_mul_lo_u32 v20, v22, s41
	v_mul_lo_u32 v21, v23, s40
	v_mad_co_u64_u32 v[10:11], null, v22, s40, v[10:11]
	s_delay_alu instid0(VALU_DEP_4) | instskip(SKIP_4) | instid1(VALU_DEP_4)
	v_cmp_gt_i64_e32 vcc_lo, s[16:17], v[18:19]
	s_mov_b32 s3, -1
	s_wait_alu 0xfffd
	v_cndmask_b32_e32 v19, s17, v19, vcc_lo
	v_cndmask_b32_e32 v18, s16, v18, vcc_lo
	v_add3_u32 v11, v21, v11, v20
	s_and_b32 vcc_lo, exec_lo, s59
	s_wait_alu 0xfffe
	s_cbranch_vccnz .LBB1_18
; %bb.16:                               ;   in Loop: Header=BB1_9 Depth=2
	s_and_b32 vcc_lo, exec_lo, s3
	s_wait_alu 0xfffe
	s_cbranch_vccnz .LBB1_64
.LBB1_17:                               ;   in Loop: Header=BB1_9 Depth=2
	s_and_saveexec_b32 s4, s2
	s_cbranch_execz .LBB1_8
	s_branch .LBB1_76
.LBB1_18:                               ;   in Loop: Header=BB1_9 Depth=2
	v_ashrrev_i32_e32 v29, 31, v10
	v_mul_lo_u32 v20, s25, v10
	v_mad_co_u64_u32 v[22:23], null, s24, v10, 0
	v_mov_b32_e32 v28, v10
	s_delay_alu instid0(VALU_DEP_4) | instskip(SKIP_2) | instid1(VALU_DEP_4)
	v_mul_lo_u32 v21, s24, v29
	v_mov_b32_e32 v26, 0
	v_dual_mov_b32 v32, 0 :: v_dual_mov_b32 v27, 0
	v_cmp_le_i64_e32 vcc_lo, v[14:15], v[28:29]
	v_mov_b32_e32 v33, 0
	v_add3_u32 v23, v23, v21, v20
	v_ashrrev_i32_e32 v21, 31, v16
	v_mov_b32_e32 v20, v16
	s_delay_alu instid0(VALU_DEP_3) | instskip(NEXT) | instid1(VALU_DEP_3)
	v_lshlrev_b64_e32 v[22:23], 3, v[22:23]
	v_mul_lo_u32 v49, s26, v21
	s_delay_alu instid0(VALU_DEP_3) | instskip(SKIP_1) | instid1(VALU_DEP_4)
	v_cmp_le_i64_e64 s5, v[18:19], v[20:21]
	v_mul_lo_u32 v48, s27, v20
	v_add_co_u32 v34, s3, v52, v22
	s_wait_alu 0xf1ff
	v_add_co_ci_u32_e64 v35, null, v53, v23, s3
	s_or_b32 s3, vcc_lo, s5
	s_wait_alu 0xfffe
	s_nor_b32 s3, s3, s1
	s_wait_alu 0xfffe
	s_and_saveexec_b32 s4, s3
	s_cbranch_execz .LBB1_20
; %bb.19:                               ;   in Loop: Header=BB1_9 Depth=2
	v_mad_co_u64_u32 v[22:23], null, s26, v20, 0
	s_delay_alu instid0(VALU_DEP_1) | instskip(NEXT) | instid1(VALU_DEP_1)
	v_add3_u32 v23, v23, v49, v48
	v_lshlrev_b64_e32 v[22:23], 3, v[22:23]
	s_delay_alu instid0(VALU_DEP_1) | instskip(SKIP_1) | instid1(VALU_DEP_2)
	v_add_co_u32 v22, s3, v34, v22
	s_wait_alu 0xf1ff
	v_add_co_ci_u32_e64 v23, null, v35, v23, s3
	global_load_b64 v[32:33], v[22:23], off
.LBB1_20:                               ;   in Loop: Header=BB1_9 Depth=2
	s_wait_alu 0xfffe
	s_or_b32 exec_lo, exec_lo, s4
	v_add_nc_u32_e32 v22, s43, v16
	s_delay_alu instid0(VALU_DEP_1) | instskip(SKIP_1) | instid1(VALU_DEP_2)
	v_ashrrev_i32_e32 v23, 31, v22
	v_mul_lo_u32 v62, s27, v22
	v_cmp_le_i64_e64 s6, v[18:19], v[22:23]
	v_mul_lo_u32 v63, s26, v23
	s_or_b32 s3, vcc_lo, s6
	s_wait_alu 0xfffe
	s_nor_b32 s3, s3, s1
	s_wait_alu 0xfffe
	s_and_saveexec_b32 s4, s3
	s_cbranch_execz .LBB1_22
; %bb.21:                               ;   in Loop: Header=BB1_9 Depth=2
	v_mad_co_u64_u32 v[24:25], null, s26, v22, 0
	s_delay_alu instid0(VALU_DEP_1) | instskip(NEXT) | instid1(VALU_DEP_1)
	v_add3_u32 v25, v25, v63, v62
	v_lshlrev_b64_e32 v[24:25], 3, v[24:25]
	s_delay_alu instid0(VALU_DEP_1) | instskip(SKIP_1) | instid1(VALU_DEP_2)
	v_add_co_u32 v24, s3, v34, v24
	s_wait_alu 0xf1ff
	v_add_co_ci_u32_e64 v25, null, v35, v25, s3
	global_load_b64 v[26:27], v[24:25], off
.LBB1_22:                               ;   in Loop: Header=BB1_9 Depth=2
	s_wait_alu 0xfffe
	s_or_b32 exec_lo, exec_lo, s4
	v_add_nc_u32_e32 v24, s43, v22
	v_mov_b32_e32 v30, 0
	v_dual_mov_b32 v31, 0 :: v_dual_mov_b32 v38, 0
	v_mov_b32_e32 v39, 0
	s_delay_alu instid0(VALU_DEP_4) | instskip(SKIP_1) | instid1(VALU_DEP_2)
	v_ashrrev_i32_e32 v25, 31, v24
	v_mul_lo_u32 v64, s27, v24
	v_cmp_le_i64_e64 s7, v[18:19], v[24:25]
	v_mul_lo_u32 v65, s26, v25
	s_or_b32 s3, vcc_lo, s7
	s_wait_alu 0xfffe
	s_nor_b32 s3, s3, s1
	s_wait_alu 0xfffe
	s_and_saveexec_b32 s4, s3
	s_cbranch_execz .LBB1_24
; %bb.23:                               ;   in Loop: Header=BB1_9 Depth=2
	v_mad_co_u64_u32 v[36:37], null, s26, v24, 0
	s_delay_alu instid0(VALU_DEP_1) | instskip(NEXT) | instid1(VALU_DEP_1)
	v_add3_u32 v37, v37, v65, v64
	v_lshlrev_b64_e32 v[36:37], 3, v[36:37]
	s_delay_alu instid0(VALU_DEP_1) | instskip(SKIP_1) | instid1(VALU_DEP_2)
	v_add_co_u32 v34, s3, v34, v36
	s_wait_alu 0xf1ff
	v_add_co_ci_u32_e64 v35, null, v35, v37, s3
	global_load_b64 v[38:39], v[34:35], off
.LBB1_24:                               ;   in Loop: Header=BB1_9 Depth=2
	s_wait_alu 0xfffe
	s_or_b32 exec_lo, exec_lo, s4
	v_add_nc_u32_e32 v40, s42, v10
	s_delay_alu instid0(VALU_DEP_1) | instskip(SKIP_2) | instid1(VALU_DEP_3)
	v_ashrrev_i32_e32 v41, 31, v40
	v_mul_lo_u32 v36, s25, v40
	v_mad_co_u64_u32 v[34:35], null, s24, v40, 0
	v_mul_lo_u32 v37, s24, v41
	v_cmp_le_i64_e64 s3, v[14:15], v[40:41]
	s_delay_alu instid0(VALU_DEP_2) | instskip(NEXT) | instid1(VALU_DEP_1)
	v_add3_u32 v35, v35, v37, v36
	v_lshlrev_b64_e32 v[34:35], 3, v[34:35]
	s_delay_alu instid0(VALU_DEP_1) | instskip(SKIP_1) | instid1(VALU_DEP_2)
	v_add_co_u32 v36, s4, v52, v34
	s_wait_alu 0xf1ff
	v_add_co_ci_u32_e64 v37, null, v53, v35, s4
	s_or_b32 s4, s3, s5
	s_wait_alu 0xfffe
	s_nor_b32 s4, s4, s1
	s_wait_alu 0xfffe
	s_and_saveexec_b32 s8, s4
	s_cbranch_execz .LBB1_26
; %bb.25:                               ;   in Loop: Header=BB1_9 Depth=2
	v_mad_co_u64_u32 v[30:31], null, s26, v20, 0
	s_delay_alu instid0(VALU_DEP_1) | instskip(NEXT) | instid1(VALU_DEP_1)
	v_add3_u32 v31, v31, v49, v48
	v_lshlrev_b64_e32 v[30:31], 3, v[30:31]
	s_delay_alu instid0(VALU_DEP_1) | instskip(SKIP_1) | instid1(VALU_DEP_2)
	v_add_co_u32 v30, s4, v36, v30
	s_wait_alu 0xf1ff
	v_add_co_ci_u32_e64 v31, null, v37, v31, s4
	global_load_b64 v[30:31], v[30:31], off
.LBB1_26:                               ;   in Loop: Header=BB1_9 Depth=2
	s_wait_alu 0xfffe
	s_or_b32 exec_lo, exec_lo, s8
	v_mov_b32_e32 v34, 0
	v_dual_mov_b32 v35, 0 :: v_dual_mov_b32 v42, 0
	v_mov_b32_e32 v43, 0
	s_or_b32 s4, s3, s6
	s_wait_alu 0xfffe
	s_nor_b32 s4, s4, s1
	s_wait_alu 0xfffe
	s_and_saveexec_b32 s8, s4
	s_cbranch_execz .LBB1_28
; %bb.27:                               ;   in Loop: Header=BB1_9 Depth=2
	v_mad_co_u64_u32 v[42:43], null, s26, v22, 0
	s_delay_alu instid0(VALU_DEP_1) | instskip(NEXT) | instid1(VALU_DEP_1)
	v_add3_u32 v43, v43, v63, v62
	v_lshlrev_b64_e32 v[42:43], 3, v[42:43]
	s_delay_alu instid0(VALU_DEP_1) | instskip(SKIP_1) | instid1(VALU_DEP_2)
	v_add_co_u32 v42, s4, v36, v42
	s_wait_alu 0xf1ff
	v_add_co_ci_u32_e64 v43, null, v37, v43, s4
	global_load_b64 v[42:43], v[42:43], off
.LBB1_28:                               ;   in Loop: Header=BB1_9 Depth=2
	s_wait_alu 0xfffe
	s_or_b32 exec_lo, exec_lo, s8
	s_or_b32 s4, s3, s7
	s_wait_alu 0xfffe
	s_nor_b32 s4, s4, s1
	s_wait_alu 0xfffe
	s_and_saveexec_b32 s8, s4
	s_cbranch_execz .LBB1_30
; %bb.29:                               ;   in Loop: Header=BB1_9 Depth=2
	v_mad_co_u64_u32 v[34:35], null, s26, v24, 0
	s_delay_alu instid0(VALU_DEP_1) | instskip(NEXT) | instid1(VALU_DEP_1)
	v_add3_u32 v35, v35, v65, v64
	v_lshlrev_b64_e32 v[34:35], 3, v[34:35]
	s_delay_alu instid0(VALU_DEP_1) | instskip(SKIP_1) | instid1(VALU_DEP_2)
	v_add_co_u32 v34, s4, v36, v34
	s_wait_alu 0xf1ff
	v_add_co_ci_u32_e64 v35, null, v37, v35, s4
	global_load_b64 v[34:35], v[34:35], off
.LBB1_30:                               ;   in Loop: Header=BB1_9 Depth=2
	s_wait_alu 0xfffe
	s_or_b32 exec_lo, exec_lo, s8
	v_add_nc_u32_e32 v44, s42, v40
	s_delay_alu instid0(VALU_DEP_1) | instskip(SKIP_2) | instid1(VALU_DEP_3)
	v_ashrrev_i32_e32 v45, 31, v44
	v_mul_lo_u32 v46, s25, v44
	v_mad_co_u64_u32 v[36:37], null, s24, v44, 0
	v_mul_lo_u32 v47, s24, v45
	s_delay_alu instid0(VALU_DEP_1) | instskip(SKIP_2) | instid1(VALU_DEP_3)
	v_add3_u32 v37, v37, v47, v46
	v_mov_b32_e32 v46, 0
	v_mov_b32_e32 v47, 0
	v_lshlrev_b64_e32 v[66:67], 3, v[36:37]
	v_mov_b32_e32 v36, 0
	v_mov_b32_e32 v37, 0
	v_cmp_le_i64_e64 s4, v[14:15], v[44:45]
	s_delay_alu instid0(VALU_DEP_4)
	v_add_co_u32 v66, s8, v52, v66
	s_wait_alu 0xf1ff
	v_add_co_ci_u32_e64 v67, null, v53, v67, s8
	s_or_b32 s8, s4, s5
	s_wait_alu 0xfffe
	s_nor_b32 s8, s8, s1
	s_wait_alu 0xfffe
	s_and_saveexec_b32 s64, s8
	s_cbranch_execz .LBB1_32
; %bb.31:                               ;   in Loop: Header=BB1_9 Depth=2
	v_mad_co_u64_u32 v[46:47], null, s26, v20, 0
	s_delay_alu instid0(VALU_DEP_1) | instskip(NEXT) | instid1(VALU_DEP_1)
	v_add3_u32 v47, v47, v49, v48
	v_lshlrev_b64_e32 v[46:47], 3, v[46:47]
	s_delay_alu instid0(VALU_DEP_1) | instskip(SKIP_1) | instid1(VALU_DEP_2)
	v_add_co_u32 v46, s8, v66, v46
	s_wait_alu 0xf1ff
	v_add_co_ci_u32_e64 v47, null, v67, v47, s8
	global_load_b64 v[46:47], v[46:47], off
.LBB1_32:                               ;   in Loop: Header=BB1_9 Depth=2
	s_or_b32 exec_lo, exec_lo, s64
	s_or_b32 s8, s4, s6
	s_wait_alu 0xfffe
	s_nor_b32 s8, s8, s1
	s_wait_alu 0xfffe
	s_and_saveexec_b32 s64, s8
	s_cbranch_execz .LBB1_34
; %bb.33:                               ;   in Loop: Header=BB1_9 Depth=2
	v_mad_co_u64_u32 v[36:37], null, s26, v22, 0
	s_delay_alu instid0(VALU_DEP_1) | instskip(NEXT) | instid1(VALU_DEP_1)
	v_add3_u32 v37, v37, v63, v62
	v_lshlrev_b64_e32 v[36:37], 3, v[36:37]
	s_delay_alu instid0(VALU_DEP_1) | instskip(SKIP_1) | instid1(VALU_DEP_2)
	v_add_co_u32 v36, s8, v66, v36
	s_wait_alu 0xf1ff
	v_add_co_ci_u32_e64 v37, null, v67, v37, s8
	global_load_b64 v[36:37], v[36:37], off
.LBB1_34:                               ;   in Loop: Header=BB1_9 Depth=2
	s_or_b32 exec_lo, exec_lo, s64
	v_mov_b32_e32 v48, 0
	v_mov_b32_e32 v49, 0
	s_or_b32 s8, s4, s7
	s_wait_alu 0xfffe
	s_nor_b32 s8, s8, s1
	s_wait_alu 0xfffe
	s_and_saveexec_b32 s64, s8
	s_cbranch_execz .LBB1_36
; %bb.35:                               ;   in Loop: Header=BB1_9 Depth=2
	v_mad_co_u64_u32 v[48:49], null, s26, v24, 0
	s_delay_alu instid0(VALU_DEP_1) | instskip(NEXT) | instid1(VALU_DEP_1)
	v_add3_u32 v49, v49, v65, v64
	v_lshlrev_b64_e32 v[48:49], 3, v[48:49]
	s_delay_alu instid0(VALU_DEP_1) | instskip(SKIP_1) | instid1(VALU_DEP_2)
	v_add_co_u32 v48, s8, v66, v48
	s_wait_alu 0xf1ff
	v_add_co_ci_u32_e64 v49, null, v67, v49, s8
	global_load_b64 v[48:49], v[48:49], off
.LBB1_36:                               ;   in Loop: Header=BB1_9 Depth=2
	s_or_b32 exec_lo, exec_lo, s64
	v_mul_lo_u32 v62, s17, v28
	v_mul_lo_u32 v63, s16, v29
	v_mad_co_u64_u32 v[28:29], null, s16, v28, 0
	s_or_b32 s64, s1, s5
	s_delay_alu instid0(SALU_CYCLE_1)
	s_nor_b32 s5, vcc_lo, s64
	v_add3_u32 v29, v29, v63, v62
	s_wait_alu 0xfffe
	s_and_saveexec_b32 s65, s5
	s_cbranch_execz .LBB1_39
; %bb.37:                               ;   in Loop: Header=BB1_9 Depth=2
	ds_load_b64 v[62:63], v55
	s_wait_loadcnt 0x0
	v_cmp_u_f64_e64 s8, v[32:33], v[32:33]
	s_wait_dscnt 0x0
	v_cmp_gt_f64_e64 s5, v[32:33], v[62:63]
	s_or_b32 s5, s8, s5
	s_wait_alu 0xfffe
	s_and_b32 exec_lo, exec_lo, s5
	s_cbranch_execz .LBB1_39
; %bb.38:                               ;   in Loop: Header=BB1_9 Depth=2
	v_add_co_u32 v62, s5, v28, v20
	s_wait_alu 0xf1ff
	v_add_co_ci_u32_e64 v63, null, v29, v21, s5
	ds_store_b64 v55, v[32:33]
	ds_store_b64 v56, v[62:63]
.LBB1_39:                               ;   in Loop: Header=BB1_9 Depth=2
	s_or_b32 exec_lo, exec_lo, s65
	s_or_b32 s8, s1, s6
	s_wait_alu 0xfffe
	s_nor_b32 s5, vcc_lo, s8
	s_wait_alu 0xfffe
	s_and_saveexec_b32 s65, s5
	s_cbranch_execz .LBB1_42
; %bb.40:                               ;   in Loop: Header=BB1_9 Depth=2
	s_wait_loadcnt 0x0
	ds_load_b64 v[32:33], v55
	v_cmp_u_f64_e64 s6, v[26:27], v[26:27]
	s_wait_dscnt 0x0
	v_cmp_gt_f64_e64 s5, v[26:27], v[32:33]
	s_or_b32 s5, s6, s5
	s_wait_alu 0xfffe
	s_and_b32 exec_lo, exec_lo, s5
	s_cbranch_execz .LBB1_42
; %bb.41:                               ;   in Loop: Header=BB1_9 Depth=2
	v_add_co_u32 v32, s5, v28, v22
	s_wait_alu 0xf1ff
	v_add_co_ci_u32_e64 v33, null, v29, v23, s5
	ds_store_b64 v55, v[26:27]
	ds_store_b64 v56, v[32:33]
.LBB1_42:                               ;   in Loop: Header=BB1_9 Depth=2
	s_or_b32 exec_lo, exec_lo, s65
	s_or_b32 s6, s1, s7
	s_wait_alu 0xfffe
	s_nor_b32 s5, vcc_lo, s6
	s_wait_alu 0xfffe
	s_and_saveexec_b32 s7, s5
	s_cbranch_execz .LBB1_45
; %bb.43:                               ;   in Loop: Header=BB1_9 Depth=2
	s_wait_loadcnt 0x0
	ds_load_b64 v[26:27], v55
	v_cmp_u_f64_e64 s5, v[38:39], v[38:39]
	s_wait_dscnt 0x0
	v_cmp_gt_f64_e32 vcc_lo, v[38:39], v[26:27]
	s_or_b32 s5, s5, vcc_lo
	s_wait_alu 0xfffe
	s_and_b32 exec_lo, exec_lo, s5
	s_cbranch_execz .LBB1_45
; %bb.44:                               ;   in Loop: Header=BB1_9 Depth=2
	v_add_co_u32 v26, vcc_lo, v28, v24
	s_wait_alu 0xfffd
	v_add_co_ci_u32_e64 v27, null, v29, v25, vcc_lo
	ds_store_b64 v55, v[38:39]
	ds_store_b64 v56, v[26:27]
.LBB1_45:                               ;   in Loop: Header=BB1_9 Depth=2
	s_wait_alu 0xfffe
	s_or_b32 exec_lo, exec_lo, s7
	v_mul_lo_u32 v28, s17, v40
	v_mul_lo_u32 v29, s16, v41
	s_wait_loadcnt 0x0
	v_mad_co_u64_u32 v[26:27], null, s16, v40, 0
	s_nor_b32 s5, s3, s64
	v_add3_u32 v27, v27, v29, v28
	s_wait_alu 0xfffe
	s_and_saveexec_b32 s7, s5
	s_cbranch_execz .LBB1_48
; %bb.46:                               ;   in Loop: Header=BB1_9 Depth=2
	ds_load_b64 v[28:29], v55
	v_cmp_u_f64_e64 s5, v[30:31], v[30:31]
	s_wait_dscnt 0x0
	v_cmp_gt_f64_e32 vcc_lo, v[30:31], v[28:29]
	s_or_b32 s5, s5, vcc_lo
	s_wait_alu 0xfffe
	s_and_b32 exec_lo, exec_lo, s5
	s_cbranch_execz .LBB1_48
; %bb.47:                               ;   in Loop: Header=BB1_9 Depth=2
	v_add_co_u32 v28, vcc_lo, v26, v20
	s_wait_alu 0xfffd
	v_add_co_ci_u32_e64 v29, null, v27, v21, vcc_lo
	ds_store_b64 v55, v[30:31]
	ds_store_b64 v56, v[28:29]
.LBB1_48:                               ;   in Loop: Header=BB1_9 Depth=2
	s_wait_alu 0xfffe
	s_or_b32 exec_lo, exec_lo, s7
	s_nor_b32 s5, s3, s8
	s_wait_alu 0xfffe
	s_and_saveexec_b32 s7, s5
	s_cbranch_execz .LBB1_51
; %bb.49:                               ;   in Loop: Header=BB1_9 Depth=2
	ds_load_b64 v[28:29], v55
	v_cmp_u_f64_e64 s5, v[42:43], v[42:43]
	s_wait_dscnt 0x0
	v_cmp_gt_f64_e32 vcc_lo, v[42:43], v[28:29]
	s_or_b32 s5, s5, vcc_lo
	s_wait_alu 0xfffe
	s_and_b32 exec_lo, exec_lo, s5
	s_cbranch_execz .LBB1_51
; %bb.50:                               ;   in Loop: Header=BB1_9 Depth=2
	v_add_co_u32 v28, vcc_lo, v26, v22
	s_wait_alu 0xfffd
	v_add_co_ci_u32_e64 v29, null, v27, v23, vcc_lo
	ds_store_b64 v55, v[42:43]
	ds_store_b64 v56, v[28:29]
.LBB1_51:                               ;   in Loop: Header=BB1_9 Depth=2
	s_wait_alu 0xfffe
	s_or_b32 exec_lo, exec_lo, s7
	s_nor_b32 s3, s3, s6
	s_wait_alu 0xfffe
	s_and_saveexec_b32 s5, s3
	s_cbranch_execz .LBB1_54
; %bb.52:                               ;   in Loop: Header=BB1_9 Depth=2
	ds_load_b64 v[28:29], v55
	v_cmp_u_f64_e64 s3, v[34:35], v[34:35]
	s_wait_dscnt 0x0
	v_cmp_gt_f64_e32 vcc_lo, v[34:35], v[28:29]
	s_or_b32 s3, s3, vcc_lo
	s_wait_alu 0xfffe
	s_and_b32 exec_lo, exec_lo, s3
	s_cbranch_execz .LBB1_54
; %bb.53:                               ;   in Loop: Header=BB1_9 Depth=2
	v_add_co_u32 v26, vcc_lo, v26, v24
	s_wait_alu 0xfffd
	v_add_co_ci_u32_e64 v27, null, v27, v25, vcc_lo
	ds_store_b64 v55, v[34:35]
	ds_store_b64 v56, v[26:27]
.LBB1_54:                               ;   in Loop: Header=BB1_9 Depth=2
	s_wait_alu 0xfffe
	s_or_b32 exec_lo, exec_lo, s5
	v_mul_lo_u32 v28, s17, v44
	v_mul_lo_u32 v29, s16, v45
	v_mad_co_u64_u32 v[26:27], null, s16, v44, 0
	s_nor_b32 s3, s4, s64
	v_add3_u32 v27, v27, v29, v28
	s_wait_alu 0xfffe
	s_and_saveexec_b32 s5, s3
	s_cbranch_execz .LBB1_57
; %bb.55:                               ;   in Loop: Header=BB1_9 Depth=2
	ds_load_b64 v[28:29], v55
	v_cmp_u_f64_e64 s3, v[46:47], v[46:47]
	s_wait_dscnt 0x0
	v_cmp_gt_f64_e32 vcc_lo, v[46:47], v[28:29]
	s_or_b32 s3, s3, vcc_lo
	s_wait_alu 0xfffe
	s_and_b32 exec_lo, exec_lo, s3
	s_cbranch_execz .LBB1_57
; %bb.56:                               ;   in Loop: Header=BB1_9 Depth=2
	v_add_co_u32 v20, vcc_lo, v26, v20
	s_wait_alu 0xfffd
	v_add_co_ci_u32_e64 v21, null, v27, v21, vcc_lo
	ds_store_b64 v55, v[46:47]
	ds_store_b64 v56, v[20:21]
.LBB1_57:                               ;   in Loop: Header=BB1_9 Depth=2
	s_wait_alu 0xfffe
	s_or_b32 exec_lo, exec_lo, s5
	s_nor_b32 s3, s4, s8
	s_wait_alu 0xfffe
	s_and_saveexec_b32 s5, s3
	s_cbranch_execz .LBB1_60
; %bb.58:                               ;   in Loop: Header=BB1_9 Depth=2
	ds_load_b64 v[20:21], v55
	v_cmp_u_f64_e64 s3, v[36:37], v[36:37]
	s_wait_dscnt 0x0
	v_cmp_gt_f64_e32 vcc_lo, v[36:37], v[20:21]
	s_or_b32 s3, s3, vcc_lo
	s_wait_alu 0xfffe
	s_and_b32 exec_lo, exec_lo, s3
	s_cbranch_execz .LBB1_60
; %bb.59:                               ;   in Loop: Header=BB1_9 Depth=2
	v_add_co_u32 v20, vcc_lo, v26, v22
	s_wait_alu 0xfffd
	v_add_co_ci_u32_e64 v21, null, v27, v23, vcc_lo
	ds_store_b64 v55, v[36:37]
	ds_store_b64 v56, v[20:21]
.LBB1_60:                               ;   in Loop: Header=BB1_9 Depth=2
	s_wait_alu 0xfffe
	s_or_b32 exec_lo, exec_lo, s5
	s_nor_b32 s3, s4, s6
	s_wait_alu 0xfffe
	s_and_saveexec_b32 s4, s3
	s_cbranch_execz .LBB1_63
; %bb.61:                               ;   in Loop: Header=BB1_9 Depth=2
	ds_load_b64 v[20:21], v55
	v_cmp_u_f64_e64 s3, v[48:49], v[48:49]
	s_wait_dscnt 0x0
	v_cmp_gt_f64_e32 vcc_lo, v[48:49], v[20:21]
	s_or_b32 s3, s3, vcc_lo
	s_wait_alu 0xfffe
	s_and_b32 exec_lo, exec_lo, s3
	s_cbranch_execz .LBB1_63
; %bb.62:                               ;   in Loop: Header=BB1_9 Depth=2
	v_add_co_u32 v20, vcc_lo, v26, v24
	s_wait_alu 0xfffd
	v_add_co_ci_u32_e64 v21, null, v27, v25, vcc_lo
	ds_store_b64 v55, v[48:49]
	ds_store_b64 v56, v[20:21]
.LBB1_63:                               ;   in Loop: Header=BB1_9 Depth=2
	s_wait_alu 0xfffe
	s_or_b32 exec_lo, exec_lo, s4
	s_branch .LBB1_17
.LBB1_64:                               ;   in Loop: Header=BB1_9 Depth=2
	s_mov_b32 s5, exec_lo
	v_cmpx_lt_i64_e64 v[10:11], v[14:15]
	s_cbranch_execz .LBB1_75
; %bb.65:                               ;   in Loop: Header=BB1_9 Depth=2
	v_dual_mov_b32 v21, v11 :: v_dual_mov_b32 v20, v10
	s_mov_b32 s6, 0
	v_cmp_lt_i64_e32 vcc_lo, v[16:17], v[18:19]
	s_branch .LBB1_67
.LBB1_66:                               ;   in Loop: Header=BB1_67 Depth=3
	s_wait_alu 0xfffe
	s_or_b32 exec_lo, exec_lo, s7
	v_add_co_u32 v20, s3, v20, s40
	s_wait_alu 0xf1ff
	v_add_co_ci_u32_e64 v21, null, s41, v21, s3
	s_delay_alu instid0(VALU_DEP_1)
	v_cmp_ge_i64_e64 s3, v[20:21], v[14:15]
	s_or_b32 s6, s3, s6
	s_wait_alu 0xfffe
	s_and_not1_b32 exec_lo, exec_lo, s6
	s_cbranch_execz .LBB1_75
.LBB1_67:                               ;   Parent Loop BB1_6 Depth=1
                                        ;     Parent Loop BB1_9 Depth=2
                                        ; =>    This Loop Header: Depth=3
                                        ;         Child Loop BB1_70 Depth 4
                                        ;           Child Loop BB1_73 Depth 5
	s_and_saveexec_b32 s7, vcc_lo
	s_cbranch_execz .LBB1_66
; %bb.68:                               ;   in Loop: Header=BB1_67 Depth=3
	v_mul_lo_u32 v22, v21, s24
	v_mul_lo_u32 v23, v20, s25
	v_mad_co_u64_u32 v[24:25], null, v20, s24, 0
	v_mul_lo_u32 v26, v21, s16
	v_mul_lo_u32 v27, v20, s17
	s_mov_b32 s8, 0
	s_delay_alu instid0(VALU_DEP_3) | instskip(SKIP_1) | instid1(VALU_DEP_2)
	v_add3_u32 v25, v25, v23, v22
	v_mad_co_u64_u32 v[22:23], null, v20, s16, 0
	v_lshlrev_b64_e32 v[24:25], 3, v[24:25]
	s_delay_alu instid0(VALU_DEP_2) | instskip(NEXT) | instid1(VALU_DEP_2)
	v_add3_u32 v23, v23, v27, v26
	v_add_co_u32 v34, s3, s20, v24
	s_wait_alu 0xf1ff
	s_delay_alu instid0(VALU_DEP_3)
	v_add_co_ci_u32_e64 v35, null, s21, v25, s3
	v_dual_mov_b32 v25, v17 :: v_dual_mov_b32 v24, v16
	s_branch .LBB1_70
.LBB1_69:                               ;   in Loop: Header=BB1_70 Depth=4
	s_or_b32 exec_lo, exec_lo, s64
	v_add_co_u32 v24, s3, v24, s36
	s_wait_alu 0xf1ff
	v_add_co_ci_u32_e64 v25, null, s37, v25, s3
	s_delay_alu instid0(VALU_DEP_1)
	v_cmp_ge_i64_e64 s3, v[24:25], v[18:19]
	s_wait_alu 0xfffe
	s_or_b32 s8, s3, s8
	s_wait_alu 0xfffe
	s_and_not1_b32 exec_lo, exec_lo, s8
	s_cbranch_execz .LBB1_66
.LBB1_70:                               ;   Parent Loop BB1_6 Depth=1
                                        ;     Parent Loop BB1_9 Depth=2
                                        ;       Parent Loop BB1_67 Depth=3
                                        ; =>      This Loop Header: Depth=4
                                        ;           Child Loop BB1_73 Depth 5
	s_and_saveexec_b32 s64, s2
	s_cbranch_execz .LBB1_69
; %bb.71:                               ;   in Loop: Header=BB1_70 Depth=4
	s_delay_alu instid0(VALU_DEP_1) | instskip(SKIP_4) | instid1(VALU_DEP_2)
	v_mul_lo_u32 v28, v25, s26
	v_mul_lo_u32 v29, v24, s27
	v_mad_co_u64_u32 v[26:27], null, v24, s26, 0
	v_mov_b32_e32 v36, v54
	s_mov_b32 s65, 0
	v_add3_u32 v27, v27, v29, v28
	v_dual_mov_b32 v29, v5 :: v_dual_mov_b32 v28, v4
	s_delay_alu instid0(VALU_DEP_2) | instskip(SKIP_3) | instid1(VALU_DEP_3)
	v_lshlrev_b64_e32 v[30:31], 3, v[26:27]
	v_add_co_u32 v26, s3, v24, v22
	s_wait_alu 0xf1ff
	v_add_co_ci_u32_e64 v27, null, v25, v23, s3
	v_add_co_u32 v37, s3, v34, v30
	s_wait_alu 0xf1ff
	v_add_co_ci_u32_e64 v38, null, v35, v31, s3
	v_dual_mov_b32 v31, v3 :: v_dual_mov_b32 v30, v2
	s_branch .LBB1_73
.LBB1_72:                               ;   in Loop: Header=BB1_73 Depth=5
	s_wait_alu 0xfffe
	s_or_b32 exec_lo, exec_lo, s3
	v_add_co_u32 v30, s3, v30, s44
	s_wait_alu 0xf1ff
	v_add_co_ci_u32_e64 v31, null, s45, v31, s3
	v_add_co_u32 v28, s4, v28, s48
	s_wait_alu 0xf1ff
	v_add_co_ci_u32_e64 v29, null, s49, v29, s4
	s_delay_alu instid0(VALU_DEP_3) | instskip(SKIP_2) | instid1(SALU_CYCLE_1)
	v_cmp_le_i64_e64 s3, s[12:13], v[30:31]
	v_add_nc_u32_e32 v36, s60, v36
	s_or_b32 s65, s3, s65
	s_and_not1_b32 exec_lo, exec_lo, s65
	s_cbranch_execz .LBB1_69
.LBB1_73:                               ;   Parent Loop BB1_6 Depth=1
                                        ;     Parent Loop BB1_9 Depth=2
                                        ;       Parent Loop BB1_67 Depth=3
                                        ;         Parent Loop BB1_70 Depth=4
                                        ; =>        This Inner Loop Header: Depth=5
	v_lshlrev_b64_e32 v[32:33], 3, v[28:29]
	v_add_nc_u32_e32 v39, v36, v57
	ds_load_b64 v[40:41], v39
	v_add_co_u32 v32, s3, v37, v32
	s_wait_alu 0xf1ff
	v_add_co_ci_u32_e64 v33, null, v38, v33, s3
	global_load_b64 v[32:33], v[32:33], off
	s_wait_loadcnt_dscnt 0x0
	v_cmp_gt_f64_e64 s3, v[32:33], v[40:41]
	v_cmp_u_f64_e64 s4, v[32:33], v[32:33]
	s_or_b32 s4, s4, s3
	s_wait_alu 0xfffe
	s_and_saveexec_b32 s3, s4
	s_cbranch_execz .LBB1_72
; %bb.74:                               ;   in Loop: Header=BB1_73 Depth=5
	v_add_nc_u32_e32 v40, v36, v58
	ds_store_b64 v39, v[32:33]
	ds_store_b64 v40, v[26:27]
	s_branch .LBB1_72
.LBB1_75:                               ;   in Loop: Header=BB1_9 Depth=2
	s_wait_alu 0xfffe
	s_or_b32 exec_lo, exec_lo, s5
	s_and_saveexec_b32 s4, s2
	s_cbranch_execz .LBB1_8
.LBB1_76:                               ;   in Loop: Header=BB1_9 Depth=2
	v_add_co_u32 v16, vcc_lo, v12, v60
	s_wait_alu 0xfffd
	v_add_co_ci_u32_e64 v17, null, v13, v61, vcc_lo
	v_mov_b32_e32 v20, v54
	s_mov_b32 s5, 0
	s_delay_alu instid0(VALU_DEP_2) | instskip(NEXT) | instid1(VALU_DEP_1)
	v_lshlrev_b64_e32 v[16:17], 3, v[16:17]
	v_add_co_u32 v16, vcc_lo, s18, v16
	s_wait_alu 0xfffd
	s_delay_alu instid0(VALU_DEP_2) | instskip(NEXT) | instid1(VALU_DEP_2)
	v_add_co_ci_u32_e64 v17, null, s19, v17, vcc_lo
	v_mul_lo_u32 v19, s13, v16
	s_delay_alu instid0(VALU_DEP_2) | instskip(SKIP_1) | instid1(VALU_DEP_1)
	v_mul_lo_u32 v18, s12, v17
	v_mad_co_u64_u32 v[16:17], null, s12, v16, v[6:7]
	v_add3_u32 v17, v19, v17, v18
	v_dual_mov_b32 v19, v3 :: v_dual_mov_b32 v18, v2
.LBB1_77:                               ;   Parent Loop BB1_6 Depth=1
                                        ;     Parent Loop BB1_9 Depth=2
                                        ; =>    This Inner Loop Header: Depth=3
	v_add_nc_u32_e32 v31, v20, v57
	v_add_nc_u32_e32 v32, v20, v58
	v_add_co_u32 v21, vcc_lo, s28, v16
	s_wait_alu 0xfffd
	v_add_co_ci_u32_e64 v22, null, s29, v17, vcc_lo
	ds_load_b64 v[23:24], v31
	ds_load_b64 v[25:26], v32
	v_add_co_u32 v27, vcc_lo, s30, v16
	s_wait_alu 0xfffd
	v_add_co_ci_u32_e64 v28, null, s31, v17, vcc_lo
	v_add_co_u32 v18, vcc_lo, v18, s44
	s_wait_alu 0xfffd
	v_add_co_ci_u32_e64 v19, null, s45, v19, vcc_lo
	;; [unrolled: 3-line block ×3, first 2 shown]
	s_delay_alu instid0(VALU_DEP_3)
	v_cmp_le_i64_e64 s3, s[12:13], v[18:19]
	v_dual_mov_b32 v29, v8 :: v_dual_add_nc_u32 v20, s60, v20
	v_mov_b32_e32 v30, v8
	ds_store_b64 v31, v[8:9]
	ds_store_b64 v32, v[29:30]
	s_wait_alu 0xfffe
	s_or_b32 s5, s3, s5
	s_wait_dscnt 0x3
	global_store_b64 v[21:22], v[23:24], off
	s_wait_dscnt 0x2
	global_store_b64 v[27:28], v[25:26], off
	s_wait_alu 0xfffe
	s_and_not1_b32 exec_lo, exec_lo, s5
	s_cbranch_execnz .LBB1_77
	s_branch .LBB1_8
.LBB1_78:
	s_endpgm
	.section	.rodata,"a",@progbits
	.p2align	6, 0x0
	.amdhsa_kernel _ZN2at6native12_GLOBAL__N_121max_pool_forward_nhwcIdlEEvPKT_iT0_S6_S6_S6_S6_iiiiiiiiS6_S6_S6_S6_iiPS3_Pl
		.amdhsa_group_segment_fixed_size 0
		.amdhsa_private_segment_fixed_size 0
		.amdhsa_kernarg_size 400
		.amdhsa_user_sgpr_count 2
		.amdhsa_user_sgpr_dispatch_ptr 0
		.amdhsa_user_sgpr_queue_ptr 0
		.amdhsa_user_sgpr_kernarg_segment_ptr 1
		.amdhsa_user_sgpr_dispatch_id 0
		.amdhsa_user_sgpr_private_segment_size 0
		.amdhsa_wavefront_size32 1
		.amdhsa_uses_dynamic_stack 0
		.amdhsa_enable_private_segment 0
		.amdhsa_system_sgpr_workgroup_id_x 1
		.amdhsa_system_sgpr_workgroup_id_y 1
		.amdhsa_system_sgpr_workgroup_id_z 1
		.amdhsa_system_sgpr_workgroup_info 0
		.amdhsa_system_vgpr_workitem_id 2
		.amdhsa_next_free_vgpr 68
		.amdhsa_next_free_sgpr 71
		.amdhsa_reserve_vcc 1
		.amdhsa_float_round_mode_32 0
		.amdhsa_float_round_mode_16_64 0
		.amdhsa_float_denorm_mode_32 3
		.amdhsa_float_denorm_mode_16_64 3
		.amdhsa_fp16_overflow 0
		.amdhsa_workgroup_processor_mode 1
		.amdhsa_memory_ordered 1
		.amdhsa_forward_progress 1
		.amdhsa_inst_pref_size 45
		.amdhsa_round_robin_scheduling 0
		.amdhsa_exception_fp_ieee_invalid_op 0
		.amdhsa_exception_fp_denorm_src 0
		.amdhsa_exception_fp_ieee_div_zero 0
		.amdhsa_exception_fp_ieee_overflow 0
		.amdhsa_exception_fp_ieee_underflow 0
		.amdhsa_exception_fp_ieee_inexact 0
		.amdhsa_exception_int_div_zero 0
	.end_amdhsa_kernel
	.section	.text._ZN2at6native12_GLOBAL__N_121max_pool_forward_nhwcIdlEEvPKT_iT0_S6_S6_S6_S6_iiiiiiiiS6_S6_S6_S6_iiPS3_Pl,"axG",@progbits,_ZN2at6native12_GLOBAL__N_121max_pool_forward_nhwcIdlEEvPKT_iT0_S6_S6_S6_S6_iiiiiiiiS6_S6_S6_S6_iiPS3_Pl,comdat
.Lfunc_end1:
	.size	_ZN2at6native12_GLOBAL__N_121max_pool_forward_nhwcIdlEEvPKT_iT0_S6_S6_S6_S6_iiiiiiiiS6_S6_S6_S6_iiPS3_Pl, .Lfunc_end1-_ZN2at6native12_GLOBAL__N_121max_pool_forward_nhwcIdlEEvPKT_iT0_S6_S6_S6_S6_iiiiiiiiS6_S6_S6_S6_iiPS3_Pl
                                        ; -- End function
	.set _ZN2at6native12_GLOBAL__N_121max_pool_forward_nhwcIdlEEvPKT_iT0_S6_S6_S6_S6_iiiiiiiiS6_S6_S6_S6_iiPS3_Pl.num_vgpr, 68
	.set _ZN2at6native12_GLOBAL__N_121max_pool_forward_nhwcIdlEEvPKT_iT0_S6_S6_S6_S6_iiiiiiiiS6_S6_S6_S6_iiPS3_Pl.num_agpr, 0
	.set _ZN2at6native12_GLOBAL__N_121max_pool_forward_nhwcIdlEEvPKT_iT0_S6_S6_S6_S6_iiiiiiiiS6_S6_S6_S6_iiPS3_Pl.numbered_sgpr, 71
	.set _ZN2at6native12_GLOBAL__N_121max_pool_forward_nhwcIdlEEvPKT_iT0_S6_S6_S6_S6_iiiiiiiiS6_S6_S6_S6_iiPS3_Pl.num_named_barrier, 0
	.set _ZN2at6native12_GLOBAL__N_121max_pool_forward_nhwcIdlEEvPKT_iT0_S6_S6_S6_S6_iiiiiiiiS6_S6_S6_S6_iiPS3_Pl.private_seg_size, 0
	.set _ZN2at6native12_GLOBAL__N_121max_pool_forward_nhwcIdlEEvPKT_iT0_S6_S6_S6_S6_iiiiiiiiS6_S6_S6_S6_iiPS3_Pl.uses_vcc, 1
	.set _ZN2at6native12_GLOBAL__N_121max_pool_forward_nhwcIdlEEvPKT_iT0_S6_S6_S6_S6_iiiiiiiiS6_S6_S6_S6_iiPS3_Pl.uses_flat_scratch, 0
	.set _ZN2at6native12_GLOBAL__N_121max_pool_forward_nhwcIdlEEvPKT_iT0_S6_S6_S6_S6_iiiiiiiiS6_S6_S6_S6_iiPS3_Pl.has_dyn_sized_stack, 0
	.set _ZN2at6native12_GLOBAL__N_121max_pool_forward_nhwcIdlEEvPKT_iT0_S6_S6_S6_S6_iiiiiiiiS6_S6_S6_S6_iiPS3_Pl.has_recursion, 0
	.set _ZN2at6native12_GLOBAL__N_121max_pool_forward_nhwcIdlEEvPKT_iT0_S6_S6_S6_S6_iiiiiiiiS6_S6_S6_S6_iiPS3_Pl.has_indirect_call, 0
	.section	.AMDGPU.csdata,"",@progbits
; Kernel info:
; codeLenInByte = 5744
; TotalNumSgprs: 73
; NumVgprs: 68
; ScratchSize: 0
; MemoryBound: 0
; FloatMode: 240
; IeeeMode: 1
; LDSByteSize: 0 bytes/workgroup (compile time only)
; SGPRBlocks: 0
; VGPRBlocks: 8
; NumSGPRsForWavesPerEU: 73
; NumVGPRsForWavesPerEU: 68
; Occupancy: 16
; WaveLimiterHint : 1
; COMPUTE_PGM_RSRC2:SCRATCH_EN: 0
; COMPUTE_PGM_RSRC2:USER_SGPR: 2
; COMPUTE_PGM_RSRC2:TRAP_HANDLER: 0
; COMPUTE_PGM_RSRC2:TGID_X_EN: 1
; COMPUTE_PGM_RSRC2:TGID_Y_EN: 1
; COMPUTE_PGM_RSRC2:TGID_Z_EN: 1
; COMPUTE_PGM_RSRC2:TIDIG_COMP_CNT: 2
	.section	.text._ZN2at6native12_GLOBAL__N_121max_pool_forward_nchwIdiEEvT0_PKT_llliiiiiiiiiiPS4_Pl,"axG",@progbits,_ZN2at6native12_GLOBAL__N_121max_pool_forward_nchwIdiEEvT0_PKT_llliiiiiiiiiiPS4_Pl,comdat
	.globl	_ZN2at6native12_GLOBAL__N_121max_pool_forward_nchwIdiEEvT0_PKT_llliiiiiiiiiiPS4_Pl ; -- Begin function _ZN2at6native12_GLOBAL__N_121max_pool_forward_nchwIdiEEvT0_PKT_llliiiiiiiiiiPS4_Pl
	.p2align	8
	.type	_ZN2at6native12_GLOBAL__N_121max_pool_forward_nchwIdiEEvT0_PKT_llliiiiiiiiiiPS4_Pl,@function
_ZN2at6native12_GLOBAL__N_121max_pool_forward_nchwIdiEEvT0_PKT_llliiiiiiiiiiPS4_Pl: ; @_ZN2at6native12_GLOBAL__N_121max_pool_forward_nchwIdiEEvT0_PKT_llliiiiiiiiiiPS4_Pl
; %bb.0:
	s_clause 0x1
	s_load_b32 s2, s[0:1], 0x6c
	s_load_b32 s20, s[0:1], 0x0
	v_mov_b32_e32 v1, 0
	s_mov_b32 s3, exec_lo
	s_wait_kmcnt 0x0
	s_and_b32 s2, s2, 0xffff
	s_ashr_i32 s21, s20, 31
	v_mad_co_u64_u32 v[0:1], null, s2, ttmp9, v[0:1]
	s_delay_alu instid0(VALU_DEP_1)
	v_cmpx_gt_i64_e64 s[20:21], v[0:1]
	s_cbranch_execz .LBB2_11
; %bb.1:
	s_clause 0x1
	s_load_b256 s[4:11], s[0:1], 0x28
	s_load_b64 s[22:23], s[0:1], 0x48
	s_add_nc_u64 s[26:27], s[0:1], 0x60
	s_clause 0x2
	s_load_b64 s[24:25], s[0:1], 0x8
	s_load_b128 s[12:15], s[0:1], 0x18
	s_load_b128 s[16:19], s[0:1], 0x50
	s_load_b32 s0, s[26:27], 0x0
	s_mov_b32 s3, 0
	s_wait_kmcnt 0x0
	s_add_co_i32 s1, s6, -1
	s_add_co_i32 s6, s7, -1
	s_abs_i32 s34, s5
	s_abs_i32 s36, s4
	s_max_u32 s30, s22, 1
	s_wait_alu 0xfffe
	s_mul_i32 s38, s22, s1
	s_mul_i32 s39, s23, s6
	s_cvt_f32_u32 s1, s34
	s_cvt_f32_u32 s6, s36
	s_max_u32 s31, s23, 1
	s_cvt_f32_u32 s7, s30
	s_cvt_f32_u32 s26, s31
	s_wait_alu 0xfffe
	v_rcp_iflag_f32_e32 v2, s1
	v_rcp_iflag_f32_e32 v3, s6
	;; [unrolled: 1-line block ×4, first 2 shown]
	s_mul_i32 s37, s0, s2
	s_sub_co_i32 s0, 0, s34
	s_sub_co_i32 s1, 0, s36
	;; [unrolled: 1-line block ×4, first 2 shown]
	s_ashr_i32 s29, s23, 31
	v_readfirstlane_b32 s7, v2
	v_readfirstlane_b32 s26, v3
	;; [unrolled: 1-line block ×4, first 2 shown]
	s_ashr_i32 s33, s5, 31
	s_mul_f32 s7, s7, 0x4f7ffffe
	s_mul_f32 s26, s26, 0x4f7ffffe
	;; [unrolled: 1-line block ×4, first 2 shown]
	s_wait_alu 0xfffe
	s_cvt_u32_f32 s7, s7
	s_cvt_u32_f32 s26, s26
	;; [unrolled: 1-line block ×4, first 2 shown]
	s_wait_alu 0xfffe
	s_mul_i32 s0, s0, s7
	s_mul_i32 s1, s1, s26
	;; [unrolled: 1-line block ×3, first 2 shown]
	s_wait_alu 0xfffe
	s_mul_hi_u32 s0, s7, s0
	s_mul_hi_u32 s1, s26, s1
	s_mul_i32 s6, s6, s28
	s_mul_hi_u32 s2, s27, s2
	s_wait_alu 0xfffe
	s_add_co_i32 s40, s7, s0
	s_add_co_i32 s41, s26, s1
	s_mul_u64 s[0:1], s[14:15], s[12:13]
	s_add_co_i32 s42, s27, s2
	s_mul_hi_u32 s2, s28, s6
	s_wait_alu 0xfffe
	s_lshl_b64 s[6:7], s[0:1], 3
	s_ashr_i32 s1, s22, 31
	s_mov_b32 s0, s22
	s_add_co_i32 s13, s28, s2
	s_wait_alu 0xfffe
	s_mul_u64 s[0:1], s[14:15], s[0:1]
	s_mov_b32 s28, s23
	s_ashr_i32 s35, s4, 31
	s_add_co_i32 s38, s38, 1
	s_add_co_i32 s39, s39, 1
	s_sub_co_i32 s43, 0, s11
	s_wait_alu 0xfffe
	s_lshl_b64 s[26:27], s[0:1], 3
	s_lshl_b64 s[28:29], s[28:29], 3
	s_mul_i32 s44, s22, s14
	s_branch .LBB2_4
.LBB2_2:                                ;   in Loop: Header=BB2_4 Depth=1
	s_or_b32 exec_lo, exec_lo, s46
.LBB2_3:                                ;   in Loop: Header=BB2_4 Depth=1
	s_wait_alu 0xfffe
	s_or_b32 exec_lo, exec_lo, s45
	v_lshlrev_b64_e32 v[6:7], 3, v[0:1]
	v_add_co_u32 v0, vcc_lo, v0, s37
	s_wait_alu 0xfffd
	v_add_co_ci_u32_e64 v1, null, 0, v1, vcc_lo
	v_ashrrev_i32_e32 v3, 31, v2
	s_delay_alu instid0(VALU_DEP_4)
	v_add_co_u32 v8, vcc_lo, s16, v6
	s_wait_alu 0xfffd
	v_add_co_ci_u32_e64 v9, null, s17, v7, vcc_lo
	v_cmp_le_i64_e32 vcc_lo, s[20:21], v[0:1]
	v_add_co_u32 v6, s0, s18, v6
	s_wait_alu 0xf1ff
	v_add_co_ci_u32_e64 v7, null, s19, v7, s0
	global_store_b64 v[8:9], v[4:5], off
	global_store_b64 v[6:7], v[2:3], off
	s_or_b32 s3, vcc_lo, s3
	s_wait_alu 0xfffe
	s_and_not1_b32 exec_lo, exec_lo, s3
	s_cbranch_execz .LBB2_11
.LBB2_4:                                ; =>This Loop Header: Depth=1
                                        ;     Child Loop BB2_7 Depth 2
                                        ;       Child Loop BB2_9 Depth 3
	v_sub_nc_u32_e32 v2, 0, v0
	s_mov_b32 s45, exec_lo
	s_delay_alu instid0(VALU_DEP_1) | instskip(NEXT) | instid1(VALU_DEP_1)
	v_max_i32_e32 v2, v0, v2
	v_mul_hi_u32 v3, v2, s40
	s_delay_alu instid0(VALU_DEP_1) | instskip(NEXT) | instid1(VALU_DEP_1)
	v_mul_lo_u32 v4, v3, s34
	v_sub_nc_u32_e32 v2, v2, v4
	v_add_nc_u32_e32 v4, 1, v3
	s_delay_alu instid0(VALU_DEP_2) | instskip(SKIP_2) | instid1(VALU_DEP_2)
	v_subrev_nc_u32_e32 v5, s34, v2
	v_cmp_le_u32_e32 vcc_lo, s34, v2
	s_wait_alu 0xfffd
	v_dual_cndmask_b32 v3, v3, v4 :: v_dual_cndmask_b32 v2, v2, v5
	v_ashrrev_i32_e32 v4, 31, v0
	s_delay_alu instid0(VALU_DEP_2) | instskip(NEXT) | instid1(VALU_DEP_3)
	v_add_nc_u32_e32 v5, 1, v3
	v_cmp_le_u32_e32 vcc_lo, s34, v2
	s_delay_alu instid0(VALU_DEP_3) | instskip(SKIP_1) | instid1(VALU_DEP_3)
	v_xor_b32_e32 v4, s33, v4
	s_wait_alu 0xfffd
	v_cndmask_b32_e32 v2, v3, v5, vcc_lo
	s_delay_alu instid0(VALU_DEP_1) | instskip(NEXT) | instid1(VALU_DEP_1)
	v_xor_b32_e32 v2, v2, v4
	v_sub_nc_u32_e32 v2, v2, v4
	s_delay_alu instid0(VALU_DEP_1) | instskip(NEXT) | instid1(VALU_DEP_1)
	v_sub_nc_u32_e32 v3, 0, v2
	v_max_i32_e32 v3, v2, v3
	s_delay_alu instid0(VALU_DEP_1) | instskip(NEXT) | instid1(VALU_DEP_1)
	v_mul_hi_u32 v4, v3, s41
	v_mul_lo_u32 v5, v4, s36
	s_delay_alu instid0(VALU_DEP_1) | instskip(SKIP_1) | instid1(VALU_DEP_2)
	v_sub_nc_u32_e32 v3, v3, v5
	v_add_nc_u32_e32 v5, 1, v4
	v_subrev_nc_u32_e32 v6, s36, v3
	v_cmp_le_u32_e32 vcc_lo, s36, v3
	s_wait_alu 0xfffd
	s_delay_alu instid0(VALU_DEP_2) | instskip(SKIP_1) | instid1(VALU_DEP_2)
	v_dual_cndmask_b32 v4, v4, v5 :: v_dual_cndmask_b32 v3, v3, v6
	v_ashrrev_i32_e32 v5, 31, v2
	v_add_nc_u32_e32 v6, 1, v4
	s_delay_alu instid0(VALU_DEP_3) | instskip(NEXT) | instid1(VALU_DEP_3)
	v_cmp_le_u32_e32 vcc_lo, s36, v3
	v_xor_b32_e32 v5, s35, v5
	s_wait_alu 0xfffd
	s_delay_alu instid0(VALU_DEP_3) | instskip(SKIP_1) | instid1(VALU_DEP_2)
	v_cndmask_b32_e32 v3, v4, v6, vcc_lo
	v_mul_lo_u32 v4, v2, s5
	v_xor_b32_e32 v3, v3, v5
	s_delay_alu instid0(VALU_DEP_1) | instskip(NEXT) | instid1(VALU_DEP_1)
	v_sub_nc_u32_e32 v6, v3, v5
	v_mul_lo_u32 v3, v6, s4
	s_delay_alu instid0(VALU_DEP_1) | instskip(SKIP_1) | instid1(VALU_DEP_2)
	v_sub_nc_u32_e32 v2, v2, v3
	v_sub_nc_u32_e32 v3, v0, v4
	v_mul_lo_u32 v4, v2, s8
	s_delay_alu instid0(VALU_DEP_2) | instskip(NEXT) | instid1(VALU_DEP_2)
	v_mul_lo_u32 v8, v3, s9
	v_subrev_nc_u32_e32 v2, s10, v4
	s_delay_alu instid0(VALU_DEP_2) | instskip(NEXT) | instid1(VALU_DEP_2)
	v_subrev_nc_u32_e32 v7, s11, v8
	v_max_i32_e32 v3, 0, v2
	s_delay_alu instid0(VALU_DEP_2) | instskip(NEXT) | instid1(VALU_DEP_2)
	v_max_i32_e32 v5, 0, v7
	v_add_nc_u32_e32 v3, s10, v3
	s_delay_alu instid0(VALU_DEP_2) | instskip(NEXT) | instid1(VALU_DEP_2)
	v_add_nc_u32_e32 v5, s11, v5
	v_cmp_ne_u32_e32 vcc_lo, v3, v4
	s_delay_alu instid0(VALU_DEP_2) | instskip(SKIP_3) | instid1(VALU_DEP_2)
	v_cmp_ne_u32_e64 s0, v5, v8
	s_wait_alu 0xfffd
	v_cndmask_b32_e64 v9, 0, 1, vcc_lo
	s_wait_alu 0xf1ff
	v_cndmask_b32_e64 v10, 0, 1, s0
	s_delay_alu instid0(VALU_DEP_2) | instskip(NEXT) | instid1(VALU_DEP_2)
	v_add_nc_u32_e32 v4, v4, v9
	v_add_nc_u32_e32 v9, v8, v10
	s_delay_alu instid0(VALU_DEP_2) | instskip(NEXT) | instid1(VALU_DEP_2)
	v_sub_nc_u32_e32 v3, v3, v4
	v_sub_nc_u32_e32 v4, v5, v9
	s_delay_alu instid0(VALU_DEP_2) | instskip(NEXT) | instid1(VALU_DEP_2)
	v_mul_hi_u32 v5, v3, s42
	v_mul_hi_u32 v9, v4, s13
	s_delay_alu instid0(VALU_DEP_2) | instskip(NEXT) | instid1(VALU_DEP_2)
	v_mul_lo_u32 v10, v5, s30
	v_mul_lo_u32 v11, v9, s31
	s_delay_alu instid0(VALU_DEP_2) | instskip(SKIP_1) | instid1(VALU_DEP_3)
	v_sub_nc_u32_e32 v3, v3, v10
	v_add_nc_u32_e32 v10, 1, v5
	v_sub_nc_u32_e32 v4, v4, v11
	v_add_nc_u32_e32 v11, 1, v9
	s_delay_alu instid0(VALU_DEP_4) | instskip(SKIP_1) | instid1(VALU_DEP_4)
	v_subrev_nc_u32_e32 v12, s30, v3
	v_cmp_le_u32_e64 s1, s30, v3
	v_cmp_le_u32_e64 s2, s31, v4
	s_wait_alu 0xf1ff
	s_delay_alu instid0(VALU_DEP_2) | instskip(SKIP_3) | instid1(VALU_DEP_4)
	v_cndmask_b32_e64 v5, v5, v10, s1
	v_subrev_nc_u32_e32 v10, s31, v4
	v_cndmask_b32_e64 v3, v3, v12, s1
	v_cndmask_b32_e64 v9, v9, v11, s2
	v_add_nc_u32_e32 v11, 1, v5
	s_delay_alu instid0(VALU_DEP_4) | instskip(NEXT) | instid1(VALU_DEP_4)
	v_cndmask_b32_e64 v4, v4, v10, s2
	v_cmp_le_u32_e64 s1, s30, v3
	s_delay_alu instid0(VALU_DEP_4) | instskip(SKIP_1) | instid1(VALU_DEP_2)
	v_add_nc_u32_e32 v10, 1, v9
	s_wait_alu 0xf1ff
	v_cndmask_b32_e64 v3, v5, v11, s1
	v_cmp_le_u32_e64 s1, s31, v4
	s_delay_alu instid0(VALU_DEP_2) | instskip(SKIP_1) | instid1(VALU_DEP_2)
	v_add_co_ci_u32_e64 v3, null, 0, v3, vcc_lo
	s_wait_alu 0xf1ff
	v_cndmask_b32_e64 v4, v9, v10, s1
	s_delay_alu instid0(VALU_DEP_1) | instskip(NEXT) | instid1(VALU_DEP_3)
	v_add_co_ci_u32_e64 v5, null, 0, v4, s0
	v_mad_co_u64_u32 v[3:4], null, s22, v3, v[2:3]
	v_add_nc_u32_e32 v2, s38, v2
	s_delay_alu instid0(VALU_DEP_3) | instskip(SKIP_2) | instid1(VALU_DEP_4)
	v_mul_lo_u32 v9, s23, v5
	v_mov_b32_e32 v4, 0
	v_mov_b32_e32 v5, 0xfff00000
	v_min_i32_e32 v12, s12, v2
	v_mul_lo_u32 v10, v3, s14
	v_add_nc_u32_e32 v11, v7, v9
	s_delay_alu instid0(VALU_DEP_1) | instskip(NEXT) | instid1(VALU_DEP_4)
	v_add_nc_u32_e32 v2, v11, v10
	v_cmpx_lt_i32_e64 v3, v12
	s_cbranch_execz .LBB2_3
; %bb.5:                                ;   in Loop: Header=BB2_4 Depth=1
	v_add3_u32 v4, s43, v9, v8
	v_ashrrev_i32_e32 v8, 31, v3
	v_mul_lo_u32 v9, s15, v3
	v_mul_lo_u32 v14, s7, v6
	s_mov_b32 s46, 0
	v_ashrrev_i32_e32 v5, 31, v4
	v_mul_lo_u32 v8, s14, v8
	s_delay_alu instid0(VALU_DEP_2) | instskip(NEXT) | instid1(VALU_DEP_1)
	v_mad_co_u64_u32 v[4:5], null, s14, v3, v[4:5]
	v_add3_u32 v5, v9, v5, v8
	v_ashrrev_i32_e32 v8, 31, v6
	v_add_nc_u32_e32 v9, s39, v7
	s_delay_alu instid0(VALU_DEP_3) | instskip(NEXT) | instid1(VALU_DEP_1)
	v_lshlrev_b64_e32 v[4:5], 3, v[4:5]
	v_mad_co_u64_u32 v[6:7], null, s6, v6, v[4:5]
	s_delay_alu instid0(VALU_DEP_4) | instskip(NEXT) | instid1(VALU_DEP_2)
	v_mul_lo_u32 v4, s6, v8
	v_add_co_u32 v6, s0, s24, v6
	s_delay_alu instid0(VALU_DEP_2)
	v_add3_u32 v7, v14, v7, v4
	v_mov_b32_e32 v4, 0
	v_min_i32_e32 v13, s14, v9
	v_mov_b32_e32 v5, 0xfff00000
	s_wait_alu 0xf1ff
	v_add_co_ci_u32_e64 v7, null, s25, v7, s0
	s_delay_alu instid0(VALU_DEP_3)
	v_cmp_lt_i32_e32 vcc_lo, v11, v13
	s_branch .LBB2_7
.LBB2_6:                                ;   in Loop: Header=BB2_7 Depth=2
	s_or_b32 exec_lo, exec_lo, s47
	v_add_nc_u32_e32 v3, s22, v3
	s_wait_alu 0xfffe
	v_add_co_u32 v6, s1, v6, s26
	s_wait_alu 0xf1ff
	v_add_co_ci_u32_e64 v7, null, s27, v7, s1
	v_cmp_ge_i32_e64 s0, v3, v12
	v_add_nc_u32_e32 v10, s44, v10
	s_or_b32 s46, s0, s46
	s_delay_alu instid0(SALU_CYCLE_1)
	s_and_not1_b32 exec_lo, exec_lo, s46
	s_cbranch_execz .LBB2_2
.LBB2_7:                                ;   Parent Loop BB2_4 Depth=1
                                        ; =>  This Loop Header: Depth=2
                                        ;       Child Loop BB2_9 Depth 3
	s_and_saveexec_b32 s47, vcc_lo
	s_cbranch_execz .LBB2_6
; %bb.8:                                ;   in Loop: Header=BB2_7 Depth=2
	v_dual_mov_b32 v9, v7 :: v_dual_mov_b32 v8, v6
	v_mov_b32_e32 v14, v11
	s_mov_b32 s48, 0
.LBB2_9:                                ;   Parent Loop BB2_4 Depth=1
                                        ;     Parent Loop BB2_7 Depth=2
                                        ; =>    This Inner Loop Header: Depth=3
	global_load_b64 v[15:16], v[8:9], off
	v_add_nc_u32_e32 v17, v10, v14
	v_add_nc_u32_e32 v14, s23, v14
	v_add_co_u32 v8, s2, v8, s28
	s_wait_alu 0xf1ff
	v_add_co_ci_u32_e64 v9, null, s29, v9, s2
	s_delay_alu instid0(VALU_DEP_3)
	v_cmp_ge_i32_e64 s2, v14, v13
	s_wait_loadcnt 0x0
	v_cmp_gt_f64_e64 s0, v[15:16], v[4:5]
	v_cmp_u_f64_e64 s1, v[15:16], v[15:16]
	s_or_b32 s0, s0, s1
	s_or_b32 s48, s2, s48
	s_wait_alu 0xfffe
	v_cndmask_b32_e64 v5, v5, v16, s0
	v_cndmask_b32_e64 v4, v4, v15, s0
	;; [unrolled: 1-line block ×3, first 2 shown]
	s_and_not1_b32 exec_lo, exec_lo, s48
	s_cbranch_execnz .LBB2_9
; %bb.10:                               ;   in Loop: Header=BB2_7 Depth=2
	s_or_b32 exec_lo, exec_lo, s48
	s_branch .LBB2_6
.LBB2_11:
	s_endpgm
	.section	.rodata,"a",@progbits
	.p2align	6, 0x0
	.amdhsa_kernel _ZN2at6native12_GLOBAL__N_121max_pool_forward_nchwIdiEEvT0_PKT_llliiiiiiiiiiPS4_Pl
		.amdhsa_group_segment_fixed_size 0
		.amdhsa_private_segment_fixed_size 0
		.amdhsa_kernarg_size 352
		.amdhsa_user_sgpr_count 2
		.amdhsa_user_sgpr_dispatch_ptr 0
		.amdhsa_user_sgpr_queue_ptr 0
		.amdhsa_user_sgpr_kernarg_segment_ptr 1
		.amdhsa_user_sgpr_dispatch_id 0
		.amdhsa_user_sgpr_private_segment_size 0
		.amdhsa_wavefront_size32 1
		.amdhsa_uses_dynamic_stack 0
		.amdhsa_enable_private_segment 0
		.amdhsa_system_sgpr_workgroup_id_x 1
		.amdhsa_system_sgpr_workgroup_id_y 0
		.amdhsa_system_sgpr_workgroup_id_z 0
		.amdhsa_system_sgpr_workgroup_info 0
		.amdhsa_system_vgpr_workitem_id 0
		.amdhsa_next_free_vgpr 18
		.amdhsa_next_free_sgpr 49
		.amdhsa_reserve_vcc 1
		.amdhsa_float_round_mode_32 0
		.amdhsa_float_round_mode_16_64 0
		.amdhsa_float_denorm_mode_32 3
		.amdhsa_float_denorm_mode_16_64 3
		.amdhsa_fp16_overflow 0
		.amdhsa_workgroup_processor_mode 1
		.amdhsa_memory_ordered 1
		.amdhsa_forward_progress 1
		.amdhsa_inst_pref_size 13
		.amdhsa_round_robin_scheduling 0
		.amdhsa_exception_fp_ieee_invalid_op 0
		.amdhsa_exception_fp_denorm_src 0
		.amdhsa_exception_fp_ieee_div_zero 0
		.amdhsa_exception_fp_ieee_overflow 0
		.amdhsa_exception_fp_ieee_underflow 0
		.amdhsa_exception_fp_ieee_inexact 0
		.amdhsa_exception_int_div_zero 0
	.end_amdhsa_kernel
	.section	.text._ZN2at6native12_GLOBAL__N_121max_pool_forward_nchwIdiEEvT0_PKT_llliiiiiiiiiiPS4_Pl,"axG",@progbits,_ZN2at6native12_GLOBAL__N_121max_pool_forward_nchwIdiEEvT0_PKT_llliiiiiiiiiiPS4_Pl,comdat
.Lfunc_end2:
	.size	_ZN2at6native12_GLOBAL__N_121max_pool_forward_nchwIdiEEvT0_PKT_llliiiiiiiiiiPS4_Pl, .Lfunc_end2-_ZN2at6native12_GLOBAL__N_121max_pool_forward_nchwIdiEEvT0_PKT_llliiiiiiiiiiPS4_Pl
                                        ; -- End function
	.set _ZN2at6native12_GLOBAL__N_121max_pool_forward_nchwIdiEEvT0_PKT_llliiiiiiiiiiPS4_Pl.num_vgpr, 18
	.set _ZN2at6native12_GLOBAL__N_121max_pool_forward_nchwIdiEEvT0_PKT_llliiiiiiiiiiPS4_Pl.num_agpr, 0
	.set _ZN2at6native12_GLOBAL__N_121max_pool_forward_nchwIdiEEvT0_PKT_llliiiiiiiiiiPS4_Pl.numbered_sgpr, 49
	.set _ZN2at6native12_GLOBAL__N_121max_pool_forward_nchwIdiEEvT0_PKT_llliiiiiiiiiiPS4_Pl.num_named_barrier, 0
	.set _ZN2at6native12_GLOBAL__N_121max_pool_forward_nchwIdiEEvT0_PKT_llliiiiiiiiiiPS4_Pl.private_seg_size, 0
	.set _ZN2at6native12_GLOBAL__N_121max_pool_forward_nchwIdiEEvT0_PKT_llliiiiiiiiiiPS4_Pl.uses_vcc, 1
	.set _ZN2at6native12_GLOBAL__N_121max_pool_forward_nchwIdiEEvT0_PKT_llliiiiiiiiiiPS4_Pl.uses_flat_scratch, 0
	.set _ZN2at6native12_GLOBAL__N_121max_pool_forward_nchwIdiEEvT0_PKT_llliiiiiiiiiiPS4_Pl.has_dyn_sized_stack, 0
	.set _ZN2at6native12_GLOBAL__N_121max_pool_forward_nchwIdiEEvT0_PKT_llliiiiiiiiiiPS4_Pl.has_recursion, 0
	.set _ZN2at6native12_GLOBAL__N_121max_pool_forward_nchwIdiEEvT0_PKT_llliiiiiiiiiiPS4_Pl.has_indirect_call, 0
	.section	.AMDGPU.csdata,"",@progbits
; Kernel info:
; codeLenInByte = 1588
; TotalNumSgprs: 51
; NumVgprs: 18
; ScratchSize: 0
; MemoryBound: 0
; FloatMode: 240
; IeeeMode: 1
; LDSByteSize: 0 bytes/workgroup (compile time only)
; SGPRBlocks: 0
; VGPRBlocks: 2
; NumSGPRsForWavesPerEU: 51
; NumVGPRsForWavesPerEU: 18
; Occupancy: 16
; WaveLimiterHint : 0
; COMPUTE_PGM_RSRC2:SCRATCH_EN: 0
; COMPUTE_PGM_RSRC2:USER_SGPR: 2
; COMPUTE_PGM_RSRC2:TRAP_HANDLER: 0
; COMPUTE_PGM_RSRC2:TGID_X_EN: 1
; COMPUTE_PGM_RSRC2:TGID_Y_EN: 0
; COMPUTE_PGM_RSRC2:TGID_Z_EN: 0
; COMPUTE_PGM_RSRC2:TIDIG_COMP_CNT: 0
	.section	.text._ZN2at6native12_GLOBAL__N_121max_pool_forward_nchwIdlEEvT0_PKT_llliiiiiiiiiiPS4_Pl,"axG",@progbits,_ZN2at6native12_GLOBAL__N_121max_pool_forward_nchwIdlEEvT0_PKT_llliiiiiiiiiiPS4_Pl,comdat
	.globl	_ZN2at6native12_GLOBAL__N_121max_pool_forward_nchwIdlEEvT0_PKT_llliiiiiiiiiiPS4_Pl ; -- Begin function _ZN2at6native12_GLOBAL__N_121max_pool_forward_nchwIdlEEvT0_PKT_llliiiiiiiiiiPS4_Pl
	.p2align	8
	.type	_ZN2at6native12_GLOBAL__N_121max_pool_forward_nchwIdlEEvT0_PKT_llliiiiiiiiiiPS4_Pl,@function
_ZN2at6native12_GLOBAL__N_121max_pool_forward_nchwIdlEEvT0_PKT_llliiiiiiiiiiPS4_Pl: ; @_ZN2at6native12_GLOBAL__N_121max_pool_forward_nchwIdlEEvT0_PKT_llliiiiiiiiiiPS4_Pl
; %bb.0:
	s_clause 0x1
	s_load_b32 s2, s[0:1], 0x6c
	s_load_b128 s[12:15], s[0:1], 0x0
	v_mov_b32_e32 v2, 0
	s_mov_b32 s3, exec_lo
	s_delay_alu instid0(VALU_DEP_1)
	v_mov_b32_e32 v1, v2
	s_wait_kmcnt 0x0
	s_and_b32 s2, s2, 0xffff
	s_delay_alu instid0(VALU_DEP_1) | instid1(SALU_CYCLE_1)
	v_mad_co_u64_u32 v[0:1], null, s2, ttmp9, v[0:1]
	s_delay_alu instid0(VALU_DEP_1)
	v_cmpx_gt_i64_e64 s[12:13], v[0:1]
	s_cbranch_execz .LBB3_27
; %bb.1:
	s_clause 0x1
	s_load_b256 s[4:11], s[0:1], 0x28
	s_load_b64 s[24:25], s[0:1], 0x48
	s_add_nc_u64 s[26:27], s[0:1], 0x60
	s_clause 0x1
	s_load_b128 s[16:19], s[0:1], 0x18
	s_load_b128 s[20:23], s[0:1], 0x50
	s_load_b32 s0, s[26:27], 0x0
	s_wait_kmcnt 0x0
	s_mov_b32 s26, s5
	v_cvt_f32_u32_e32 v4, s4
	v_cvt_f32_u32_e32 v3, s26
	s_add_co_i32 s1, s6, -1
	s_add_co_i32 s3, s7, -1
	s_ashr_i32 s7, s24, 31
	v_rcp_iflag_f32_e32 v4, v4
	v_rcp_iflag_f32_e32 v3, v3
	s_mov_b32 s6, s24
	s_ashr_i32 s33, s8, 31
	s_mov_b32 s42, s8
	s_ashr_i32 s45, s9, 31
	;; [unrolled: 2-line block ×3, first 2 shown]
	s_mov_b32 s8, s25
	s_wait_alu 0xfffe
	s_mul_i32 s49, s24, s1
	v_cmp_gt_u64_e64 s1, s[6:7], 1
	v_cmp_gt_u64_e64 s28, s[8:9], 1
	v_dual_mul_f32 v3, 0x4f7ffffe, v3 :: v_dual_mul_f32 v4, 0x4f7ffffe, v4
	s_mul_i32 s50, s25, s3
	s_ashr_i32 s27, s5, 31
	s_ashr_i32 s5, s4, 31
	;; [unrolled: 1-line block ×4, first 2 shown]
	s_add_co_i32 s49, s49, 1
	s_add_co_i32 s50, s50, 1
	s_mul_i32 s51, s0, s2
	s_and_b32 s0, s1, exec_lo
	s_mov_b32 s44, s10
	s_mov_b32 s48, s11
	s_cselect_b32 s11, s7, 0
	s_cselect_b32 s10, s24, 1
	s_and_b32 s0, s28, exec_lo
	v_cvt_u32_f32_e32 v16, v3
	v_cvt_u32_f32_e32 v17, v4
	s_mul_u64 s[0:1], s[18:19], s[16:17]
	s_mov_b32 s3, 0
	s_cselect_b32 s29, s9, 0
	s_cselect_b32 s28, s25, 1
	s_wait_alu 0xfffe
	s_lshl_b64 s[30:31], s[0:1], 3
	s_lshl_b64 s[34:35], s[8:9], 3
	s_ashr_i32 s36, s27, 31
	s_mov_b32 s17, 0
	s_branch .LBB3_4
.LBB3_2:                                ;   in Loop: Header=BB3_4 Depth=1
	s_or_b32 exec_lo, exec_lo, s38
.LBB3_3:                                ;   in Loop: Header=BB3_4 Depth=1
	s_wait_alu 0xfffe
	s_or_b32 exec_lo, exec_lo, s37
	v_lshlrev_b64_e32 v[3:4], 3, v[0:1]
	v_add_co_u32 v0, vcc_lo, v0, s51
	s_wait_alu 0xfffd
	v_add_co_ci_u32_e64 v1, null, 0, v1, vcc_lo
	s_delay_alu instid0(VALU_DEP_3) | instskip(SKIP_2) | instid1(VALU_DEP_3)
	v_add_co_u32 v5, vcc_lo, s20, v3
	s_wait_alu 0xfffd
	v_add_co_ci_u32_e64 v6, null, s21, v4, vcc_lo
	v_cmp_le_i64_e32 vcc_lo, s[12:13], v[0:1]
	v_add_co_u32 v3, s0, s22, v3
	s_wait_alu 0xf1ff
	v_add_co_ci_u32_e64 v4, null, s23, v4, s0
	global_store_b64 v[5:6], v[10:11], off
	global_store_b64 v[3:4], v[7:8], off
	s_or_b32 s17, vcc_lo, s17
	s_wait_alu 0xfffe
	s_and_not1_b32 exec_lo, exec_lo, s17
	s_cbranch_execz .LBB3_27
.LBB3_4:                                ; =>This Loop Header: Depth=1
                                        ;     Child Loop BB3_23 Depth 2
                                        ;       Child Loop BB3_25 Depth 3
	v_or_b32_e32 v3, s27, v1
                                        ; implicit-def: $vgpr6_vgpr7
	s_mov_b32 s0, exec_lo
	s_delay_alu instid0(VALU_DEP_1)
	v_cmpx_ne_u64_e32 0, v[2:3]
	s_wait_alu 0xfffe
	s_xor_b32 s1, exec_lo, s0
	s_cbranch_execz .LBB3_6
; %bb.5:                                ;   in Loop: Header=BB3_4 Depth=1
	s_mov_b32 s37, s36
	v_ashrrev_i32_e32 v9, 31, v1
	s_wait_alu 0xfffe
	s_add_nc_u64 s[38:39], s[26:27], s[36:37]
	s_wait_alu 0xfffe
	s_xor_b64 s[38:39], s[38:39], s[36:37]
	v_add_co_u32 v3, vcc_lo, v0, v9
	s_wait_alu 0xfffe
	s_cvt_f32_u32 s0, s38
	s_cvt_f32_u32 s2, s39
	s_sub_nc_u64 s[52:53], 0, s[38:39]
	s_wait_alu 0xfffd
	v_add_co_ci_u32_e64 v4, null, v1, v9, vcc_lo
	s_wait_alu 0xfffe
	s_fmamk_f32 s0, s2, 0x4f800000, s0
	v_xor_b32_e32 v10, v3, v9
	s_delay_alu instid0(VALU_DEP_2) | instskip(SKIP_2) | instid1(TRANS32_DEP_1)
	v_xor_b32_e32 v11, v4, v9
	s_wait_alu 0xfffe
	v_s_rcp_f32 s0, s0
	s_mul_f32 s0, s0, 0x5f7ffffc
	s_wait_alu 0xfffe
	s_delay_alu instid0(SALU_CYCLE_2) | instskip(SKIP_1) | instid1(SALU_CYCLE_2)
	s_mul_f32 s2, s0, 0x2f800000
	s_wait_alu 0xfffe
	s_trunc_f32 s2, s2
	s_wait_alu 0xfffe
	s_delay_alu instid0(SALU_CYCLE_2) | instskip(SKIP_2) | instid1(SALU_CYCLE_1)
	s_fmamk_f32 s0, s2, 0xcf800000, s0
	s_cvt_u32_f32 s41, s2
	s_wait_alu 0xfffe
	s_cvt_u32_f32 s40, s0
	s_wait_alu 0xfffe
	s_delay_alu instid0(SALU_CYCLE_2) | instskip(NEXT) | instid1(SALU_CYCLE_1)
	s_mul_u64 s[54:55], s[52:53], s[40:41]
	s_mul_hi_u32 s57, s40, s55
	s_mul_i32 s56, s40, s55
	s_mul_hi_u32 s2, s40, s54
	s_mul_i32 s37, s41, s54
	s_wait_alu 0xfffe
	s_add_nc_u64 s[56:57], s[2:3], s[56:57]
	s_mul_hi_u32 s0, s41, s54
	s_mul_hi_u32 s58, s41, s55
	s_add_co_u32 s2, s56, s37
	s_wait_alu 0xfffe
	s_add_co_ci_u32 s2, s57, s0
	s_mul_i32 s54, s41, s55
	s_add_co_ci_u32 s55, s58, 0
	s_wait_alu 0xfffe
	s_add_nc_u64 s[54:55], s[2:3], s[54:55]
	s_delay_alu instid0(SALU_CYCLE_1)
	s_add_co_u32 s40, s40, s54
	s_cselect_b32 s0, -1, 0
	s_wait_alu 0xfffe
	s_cmp_lg_u32 s0, 0
	s_add_co_ci_u32 s41, s41, s55
	s_wait_alu 0xfffe
	s_mul_u64 s[52:53], s[52:53], s[40:41]
	s_delay_alu instid0(SALU_CYCLE_1)
	s_mul_hi_u32 s55, s40, s53
	s_mul_i32 s54, s40, s53
	s_mul_hi_u32 s2, s40, s52
	s_mul_i32 s37, s41, s52
	s_wait_alu 0xfffe
	s_add_nc_u64 s[54:55], s[2:3], s[54:55]
	s_mul_hi_u32 s0, s41, s52
	s_mul_hi_u32 s56, s41, s53
	s_add_co_u32 s2, s54, s37
	s_wait_alu 0xfffe
	s_add_co_ci_u32 s2, s55, s0
	s_mul_i32 s52, s41, s53
	s_add_co_ci_u32 s53, s56, 0
	s_wait_alu 0xfffe
	s_add_nc_u64 s[52:53], s[2:3], s[52:53]
	s_delay_alu instid0(SALU_CYCLE_1)
	s_add_co_u32 s0, s40, s52
	s_cselect_b32 s2, -1, 0
	s_wait_alu 0xfffe
	v_mul_hi_u32 v12, v10, s0
	s_cmp_lg_u32 s2, 0
	v_mad_co_u64_u32 v[5:6], null, v11, s0, 0
	s_add_co_ci_u32 s2, s41, s53
	s_wait_alu 0xfffe
	v_mad_co_u64_u32 v[3:4], null, v10, s2, 0
	v_mad_co_u64_u32 v[7:8], null, v11, s2, 0
	s_delay_alu instid0(VALU_DEP_2) | instskip(SKIP_1) | instid1(VALU_DEP_3)
	v_add_co_u32 v3, vcc_lo, v12, v3
	s_wait_alu 0xfffd
	v_add_co_ci_u32_e64 v4, null, 0, v4, vcc_lo
	s_delay_alu instid0(VALU_DEP_2) | instskip(SKIP_1) | instid1(VALU_DEP_2)
	v_add_co_u32 v3, vcc_lo, v3, v5
	s_wait_alu 0xfffd
	v_add_co_ci_u32_e32 v3, vcc_lo, v4, v6, vcc_lo
	s_wait_alu 0xfffd
	v_add_co_ci_u32_e32 v4, vcc_lo, 0, v8, vcc_lo
	s_delay_alu instid0(VALU_DEP_2) | instskip(SKIP_1) | instid1(VALU_DEP_2)
	v_add_co_u32 v5, vcc_lo, v3, v7
	s_wait_alu 0xfffd
	v_add_co_ci_u32_e64 v6, null, 0, v4, vcc_lo
	s_delay_alu instid0(VALU_DEP_2) | instskip(SKIP_1) | instid1(VALU_DEP_3)
	v_mul_lo_u32 v7, s39, v5
	v_mad_co_u64_u32 v[3:4], null, s38, v5, 0
	v_mul_lo_u32 v8, s38, v6
	s_delay_alu instid0(VALU_DEP_2) | instskip(NEXT) | instid1(VALU_DEP_2)
	v_sub_co_u32 v3, vcc_lo, v10, v3
	v_add3_u32 v4, v4, v8, v7
	v_add_co_u32 v8, s0, v5, 2
	s_wait_alu 0xf1ff
	v_add_co_ci_u32_e64 v10, null, 0, v6, s0
	s_delay_alu instid0(VALU_DEP_3) | instskip(SKIP_3) | instid1(VALU_DEP_3)
	v_sub_nc_u32_e32 v7, v11, v4
	v_sub_co_u32 v12, s0, v3, s38
	s_wait_alu 0xfffd
	v_sub_co_ci_u32_e64 v4, null, v11, v4, vcc_lo
	v_subrev_co_ci_u32_e64 v7, null, s39, v7, vcc_lo
	s_delay_alu instid0(VALU_DEP_3) | instskip(SKIP_1) | instid1(VALU_DEP_2)
	v_cmp_le_u32_e32 vcc_lo, s38, v12
	s_wait_alu 0xf1ff
	v_subrev_co_ci_u32_e64 v7, null, 0, v7, s0
	s_wait_alu 0xfffd
	v_cndmask_b32_e64 v11, 0, -1, vcc_lo
	s_delay_alu instid0(VALU_DEP_2)
	v_cmp_le_u32_e32 vcc_lo, s39, v7
	s_wait_alu 0xfffd
	v_cndmask_b32_e64 v12, 0, -1, vcc_lo
	v_cmp_le_u32_e32 vcc_lo, s38, v3
	s_wait_alu 0xfffd
	v_cndmask_b32_e64 v3, 0, -1, vcc_lo
	v_cmp_le_u32_e32 vcc_lo, s39, v4
	s_wait_alu 0xfffd
	v_cndmask_b32_e64 v13, 0, -1, vcc_lo
	v_cmp_eq_u32_e32 vcc_lo, s39, v7
	s_wait_alu 0xfffd
	v_cndmask_b32_e32 v7, v12, v11, vcc_lo
	v_add_co_u32 v11, vcc_lo, v5, 1
	s_wait_alu 0xfffd
	v_add_co_ci_u32_e64 v12, null, 0, v6, vcc_lo
	v_cmp_eq_u32_e32 vcc_lo, s39, v4
	s_wait_alu 0xfffd
	v_cndmask_b32_e32 v3, v13, v3, vcc_lo
	v_cmp_ne_u32_e32 vcc_lo, 0, v7
	v_xor_b32_e32 v7, s36, v9
	s_wait_alu 0xfffd
	v_cndmask_b32_e32 v4, v12, v10, vcc_lo
	v_cmp_ne_u32_e64 s0, 0, v3
	v_cndmask_b32_e32 v3, v11, v8, vcc_lo
	s_wait_alu 0xf1ff
	s_delay_alu instid0(VALU_DEP_2) | instskip(NEXT) | instid1(VALU_DEP_2)
	v_cndmask_b32_e64 v4, v6, v4, s0
	v_cndmask_b32_e64 v3, v5, v3, s0
	s_delay_alu instid0(VALU_DEP_2) | instskip(NEXT) | instid1(VALU_DEP_2)
	v_xor_b32_e32 v4, v4, v7
	v_xor_b32_e32 v3, v3, v7
	s_delay_alu instid0(VALU_DEP_1) | instskip(SKIP_1) | instid1(VALU_DEP_3)
	v_sub_co_u32 v6, vcc_lo, v3, v7
	s_wait_alu 0xfffd
	v_sub_co_ci_u32_e64 v7, null, v4, v7, vcc_lo
.LBB3_6:                                ;   in Loop: Header=BB3_4 Depth=1
	s_wait_alu 0xfffe
	s_and_not1_saveexec_b32 s0, s1
	s_cbranch_execz .LBB3_8
; %bb.7:                                ;   in Loop: Header=BB3_4 Depth=1
	s_sub_co_i32 s1, 0, s26
	v_mov_b32_e32 v7, v2
	s_wait_alu 0xfffe
	v_mul_lo_u32 v3, s1, v16
	s_delay_alu instid0(VALU_DEP_1) | instskip(NEXT) | instid1(VALU_DEP_1)
	v_mul_hi_u32 v3, v16, v3
	v_add_nc_u32_e32 v3, v16, v3
	s_delay_alu instid0(VALU_DEP_1) | instskip(NEXT) | instid1(VALU_DEP_1)
	v_mul_hi_u32 v3, v0, v3
	v_mul_lo_u32 v4, v3, s26
	s_delay_alu instid0(VALU_DEP_1) | instskip(NEXT) | instid1(VALU_DEP_1)
	v_sub_nc_u32_e32 v4, v0, v4
	v_subrev_nc_u32_e32 v6, s26, v4
	v_cmp_le_u32_e32 vcc_lo, s26, v4
	s_wait_alu 0xfffd
	s_delay_alu instid0(VALU_DEP_2) | instskip(NEXT) | instid1(VALU_DEP_1)
	v_dual_cndmask_b32 v4, v4, v6 :: v_dual_add_nc_u32 v5, 1, v3
	v_cndmask_b32_e32 v3, v3, v5, vcc_lo
	s_delay_alu instid0(VALU_DEP_2) | instskip(NEXT) | instid1(VALU_DEP_2)
	v_cmp_le_u32_e32 vcc_lo, s26, v4
	v_add_nc_u32_e32 v5, 1, v3
	s_wait_alu 0xfffd
	s_delay_alu instid0(VALU_DEP_1)
	v_cndmask_b32_e32 v6, v3, v5, vcc_lo
.LBB3_8:                                ;   in Loop: Header=BB3_4 Depth=1
	s_wait_alu 0xfffe
	s_or_b32 exec_lo, exec_lo, s0
	v_or_b32_e32 v3, s5, v7
                                        ; implicit-def: $vgpr4_vgpr5
	s_mov_b32 s0, exec_lo
	s_delay_alu instid0(VALU_DEP_1)
	v_cmpx_ne_u64_e32 0, v[2:3]
	s_wait_alu 0xfffe
	s_xor_b32 s1, exec_lo, s0
	s_cbranch_execz .LBB3_10
; %bb.9:                                ;   in Loop: Header=BB3_4 Depth=1
	s_ashr_i32 s38, s5, 31
	v_ashrrev_i32_e32 v5, 31, v7
	s_wait_alu 0xfffe
	s_mov_b32 s39, s38
	s_wait_alu 0xfffe
	s_add_nc_u64 s[40:41], s[4:5], s[38:39]
	v_add_co_u32 v3, vcc_lo, v6, v5
	s_wait_alu 0xfffe
	s_xor_b64 s[40:41], s[40:41], s[38:39]
	s_wait_alu 0xfffd
	v_add_co_ci_u32_e64 v4, null, v7, v5, vcc_lo
	s_wait_alu 0xfffe
	s_cvt_f32_u32 s0, s40
	s_cvt_f32_u32 s2, s41
	s_sub_nc_u64 s[54:55], 0, s[40:41]
	v_xor_b32_e32 v12, v3, v5
	v_xor_b32_e32 v13, v4, v5
	s_wait_alu 0xfffe
	s_fmamk_f32 s0, s2, 0x4f800000, s0
	v_xor_b32_e32 v5, s38, v5
	s_wait_alu 0xfffe
	s_delay_alu instid0(SALU_CYCLE_1) | instskip(NEXT) | instid1(TRANS32_DEP_1)
	v_s_rcp_f32 s0, s0
	s_mul_f32 s0, s0, 0x5f7ffffc
	s_wait_alu 0xfffe
	s_delay_alu instid0(SALU_CYCLE_2) | instskip(SKIP_1) | instid1(SALU_CYCLE_2)
	s_mul_f32 s2, s0, 0x2f800000
	s_wait_alu 0xfffe
	s_trunc_f32 s2, s2
	s_wait_alu 0xfffe
	s_delay_alu instid0(SALU_CYCLE_2) | instskip(SKIP_2) | instid1(SALU_CYCLE_1)
	s_fmamk_f32 s0, s2, 0xcf800000, s0
	s_cvt_u32_f32 s53, s2
	s_wait_alu 0xfffe
	s_cvt_u32_f32 s52, s0
	s_delay_alu instid0(SALU_CYCLE_3) | instskip(NEXT) | instid1(SALU_CYCLE_1)
	s_mul_u64 s[56:57], s[54:55], s[52:53]
	s_mul_hi_u32 s59, s52, s57
	s_mul_i32 s58, s52, s57
	s_mul_hi_u32 s2, s52, s56
	s_mul_i32 s37, s53, s56
	s_wait_alu 0xfffe
	s_add_nc_u64 s[58:59], s[2:3], s[58:59]
	s_mul_hi_u32 s0, s53, s56
	s_mul_hi_u32 s39, s53, s57
	s_add_co_u32 s2, s58, s37
	s_wait_alu 0xfffe
	s_add_co_ci_u32 s2, s59, s0
	s_mul_i32 s56, s53, s57
	s_add_co_ci_u32 s57, s39, 0
	s_wait_alu 0xfffe
	s_add_nc_u64 s[56:57], s[2:3], s[56:57]
	s_delay_alu instid0(SALU_CYCLE_1) | instskip(SKIP_4) | instid1(SALU_CYCLE_1)
	s_add_co_u32 s52, s52, s56
	s_cselect_b32 s0, -1, 0
	s_wait_alu 0xfffe
	s_cmp_lg_u32 s0, 0
	s_add_co_ci_u32 s53, s53, s57
	s_mul_u64 s[54:55], s[54:55], s[52:53]
	s_delay_alu instid0(SALU_CYCLE_1)
	s_mul_hi_u32 s57, s52, s55
	s_mul_i32 s56, s52, s55
	s_mul_hi_u32 s2, s52, s54
	s_mul_i32 s37, s53, s54
	s_wait_alu 0xfffe
	s_add_nc_u64 s[56:57], s[2:3], s[56:57]
	s_mul_hi_u32 s0, s53, s54
	s_mul_hi_u32 s39, s53, s55
	s_add_co_u32 s2, s56, s37
	s_wait_alu 0xfffe
	s_add_co_ci_u32 s2, s57, s0
	s_mul_i32 s54, s53, s55
	s_add_co_ci_u32 s55, s39, 0
	s_wait_alu 0xfffe
	s_add_nc_u64 s[54:55], s[2:3], s[54:55]
	s_delay_alu instid0(SALU_CYCLE_1)
	s_add_co_u32 s0, s52, s54
	s_cselect_b32 s2, -1, 0
	s_wait_alu 0xfffe
	v_mul_hi_u32 v14, v12, s0
	s_cmp_lg_u32 s2, 0
	v_mad_co_u64_u32 v[8:9], null, v13, s0, 0
	s_add_co_ci_u32 s2, s53, s55
	s_wait_alu 0xfffe
	v_mad_co_u64_u32 v[3:4], null, v12, s2, 0
	v_mad_co_u64_u32 v[10:11], null, v13, s2, 0
	s_delay_alu instid0(VALU_DEP_2) | instskip(SKIP_1) | instid1(VALU_DEP_3)
	v_add_co_u32 v3, vcc_lo, v14, v3
	s_wait_alu 0xfffd
	v_add_co_ci_u32_e64 v4, null, 0, v4, vcc_lo
	s_delay_alu instid0(VALU_DEP_2) | instskip(SKIP_1) | instid1(VALU_DEP_2)
	v_add_co_u32 v3, vcc_lo, v3, v8
	s_wait_alu 0xfffd
	v_add_co_ci_u32_e32 v3, vcc_lo, v4, v9, vcc_lo
	s_wait_alu 0xfffd
	v_add_co_ci_u32_e32 v4, vcc_lo, 0, v11, vcc_lo
	s_delay_alu instid0(VALU_DEP_2) | instskip(SKIP_1) | instid1(VALU_DEP_2)
	v_add_co_u32 v8, vcc_lo, v3, v10
	s_wait_alu 0xfffd
	v_add_co_ci_u32_e64 v9, null, 0, v4, vcc_lo
	s_delay_alu instid0(VALU_DEP_2) | instskip(SKIP_1) | instid1(VALU_DEP_3)
	v_mul_lo_u32 v10, s41, v8
	v_mad_co_u64_u32 v[3:4], null, s40, v8, 0
	v_mul_lo_u32 v11, s40, v9
	s_delay_alu instid0(VALU_DEP_2) | instskip(NEXT) | instid1(VALU_DEP_2)
	v_sub_co_u32 v3, vcc_lo, v12, v3
	v_add3_u32 v4, v4, v11, v10
	v_add_co_u32 v11, s0, v8, 2
	s_wait_alu 0xf1ff
	v_add_co_ci_u32_e64 v12, null, 0, v9, s0
	s_delay_alu instid0(VALU_DEP_3) | instskip(SKIP_3) | instid1(VALU_DEP_3)
	v_sub_nc_u32_e32 v10, v13, v4
	v_sub_co_u32 v14, s0, v3, s40
	s_wait_alu 0xfffd
	v_sub_co_ci_u32_e64 v4, null, v13, v4, vcc_lo
	v_subrev_co_ci_u32_e64 v10, null, s41, v10, vcc_lo
	s_delay_alu instid0(VALU_DEP_3) | instskip(SKIP_1) | instid1(VALU_DEP_2)
	v_cmp_le_u32_e32 vcc_lo, s40, v14
	s_wait_alu 0xf1ff
	v_subrev_co_ci_u32_e64 v10, null, 0, v10, s0
	s_wait_alu 0xfffd
	v_cndmask_b32_e64 v13, 0, -1, vcc_lo
	s_delay_alu instid0(VALU_DEP_2)
	v_cmp_le_u32_e32 vcc_lo, s41, v10
	s_wait_alu 0xfffd
	v_cndmask_b32_e64 v14, 0, -1, vcc_lo
	v_cmp_le_u32_e32 vcc_lo, s40, v3
	s_wait_alu 0xfffd
	v_cndmask_b32_e64 v3, 0, -1, vcc_lo
	;; [unrolled: 3-line block ×3, first 2 shown]
	v_cmp_eq_u32_e32 vcc_lo, s41, v10
	s_wait_alu 0xfffd
	v_cndmask_b32_e32 v10, v14, v13, vcc_lo
	v_add_co_u32 v13, vcc_lo, v8, 1
	s_wait_alu 0xfffd
	v_add_co_ci_u32_e64 v14, null, 0, v9, vcc_lo
	v_cmp_eq_u32_e32 vcc_lo, s41, v4
	s_wait_alu 0xfffd
	v_cndmask_b32_e32 v3, v15, v3, vcc_lo
	v_cmp_ne_u32_e32 vcc_lo, 0, v10
	s_delay_alu instid0(VALU_DEP_2) | instskip(SKIP_3) | instid1(VALU_DEP_1)
	v_cmp_ne_u32_e64 s0, 0, v3
	s_wait_alu 0xfffd
	v_dual_cndmask_b32 v4, v14, v12 :: v_dual_cndmask_b32 v3, v13, v11
	s_wait_alu 0xf1ff
	v_cndmask_b32_e64 v4, v9, v4, s0
	s_delay_alu instid0(VALU_DEP_2) | instskip(NEXT) | instid1(VALU_DEP_2)
	v_cndmask_b32_e64 v3, v8, v3, s0
	v_xor_b32_e32 v8, v4, v5
	s_delay_alu instid0(VALU_DEP_2) | instskip(NEXT) | instid1(VALU_DEP_1)
	v_xor_b32_e32 v3, v3, v5
	v_sub_co_u32 v4, vcc_lo, v3, v5
	s_wait_alu 0xfffd
	s_delay_alu instid0(VALU_DEP_3)
	v_sub_co_ci_u32_e64 v5, null, v8, v5, vcc_lo
.LBB3_10:                               ;   in Loop: Header=BB3_4 Depth=1
	s_wait_alu 0xfffe
	s_and_not1_saveexec_b32 s0, s1
	s_cbranch_execz .LBB3_12
; %bb.11:                               ;   in Loop: Header=BB3_4 Depth=1
	s_sub_co_i32 s1, 0, s4
	s_wait_alu 0xfffe
	v_mul_lo_u32 v3, s1, v17
	s_delay_alu instid0(VALU_DEP_1) | instskip(NEXT) | instid1(VALU_DEP_1)
	v_mul_hi_u32 v3, v17, v3
	v_add_nc_u32_e32 v3, v17, v3
	s_delay_alu instid0(VALU_DEP_1) | instskip(NEXT) | instid1(VALU_DEP_1)
	v_mul_hi_u32 v3, v6, v3
	v_mul_lo_u32 v4, v3, s4
	v_add_nc_u32_e32 v5, 1, v3
	s_delay_alu instid0(VALU_DEP_2) | instskip(NEXT) | instid1(VALU_DEP_1)
	v_sub_nc_u32_e32 v4, v6, v4
	v_subrev_nc_u32_e32 v8, s4, v4
	v_cmp_le_u32_e32 vcc_lo, s4, v4
	s_wait_alu 0xfffd
	s_delay_alu instid0(VALU_DEP_2) | instskip(NEXT) | instid1(VALU_DEP_1)
	v_dual_cndmask_b32 v4, v4, v8 :: v_dual_cndmask_b32 v3, v3, v5
	v_cmp_le_u32_e32 vcc_lo, s4, v4
	s_delay_alu instid0(VALU_DEP_2) | instskip(SKIP_1) | instid1(VALU_DEP_1)
	v_add_nc_u32_e32 v5, 1, v3
	s_wait_alu 0xfffd
	v_dual_cndmask_b32 v4, v3, v5 :: v_dual_mov_b32 v5, v2
.LBB3_12:                               ;   in Loop: Header=BB3_4 Depth=1
	s_wait_alu 0xfffe
	s_or_b32 exec_lo, exec_lo, s0
	s_delay_alu instid0(VALU_DEP_1) | instskip(NEXT) | instid1(VALU_DEP_2)
	v_mul_lo_u32 v3, v5, s4
	v_mul_lo_u32 v10, v4, s5
	v_mad_co_u64_u32 v[8:9], null, v4, s4, 0
	s_mov_b32 s0, exec_lo
	v_add3_u32 v3, v9, v10, v3
	v_sub_co_u32 v8, vcc_lo, v6, v8
	s_wait_alu 0xfffd
	s_delay_alu instid0(VALU_DEP_2) | instskip(NEXT) | instid1(VALU_DEP_2)
	v_sub_co_ci_u32_e64 v3, null, v7, v3, vcc_lo
	v_mul_lo_u32 v9, v8, s33
	v_mad_co_u64_u32 v[10:11], null, v8, s42, 0
	s_delay_alu instid0(VALU_DEP_3) | instskip(NEXT) | instid1(VALU_DEP_2)
	v_mul_lo_u32 v3, v3, s42
	v_sub_co_u32 v8, vcc_lo, v10, s44
	s_delay_alu instid0(VALU_DEP_2) | instskip(SKIP_1) | instid1(VALU_DEP_1)
	v_add3_u32 v11, v11, v9, v3
	s_wait_alu 0xfffd
	v_subrev_co_ci_u32_e64 v9, null, s43, v11, vcc_lo
	s_delay_alu instid0(VALU_DEP_1) | instskip(SKIP_2) | instid1(VALU_DEP_1)
	v_cmp_lt_i64_e32 vcc_lo, 0, v[8:9]
	s_wait_alu 0xfffd
	v_dual_cndmask_b32 v3, 0, v9 :: v_dual_cndmask_b32 v12, 0, v8
	v_add_co_u32 v12, vcc_lo, v12, s44
	s_wait_alu 0xfffd
	s_delay_alu instid0(VALU_DEP_2) | instskip(NEXT) | instid1(VALU_DEP_1)
	v_add_co_ci_u32_e64 v13, null, s43, v3, vcc_lo
	v_cmp_ne_u64_e32 vcc_lo, v[12:13], v[10:11]
	s_wait_alu 0xfffd
	v_cndmask_b32_e64 v14, 0, 1, vcc_lo
	s_delay_alu instid0(VALU_DEP_1) | instskip(SKIP_2) | instid1(VALU_DEP_2)
	v_add_co_u32 v3, vcc_lo, v10, v14
	s_wait_alu 0xfffd
	v_add_co_ci_u32_e64 v10, null, 0, v11, vcc_lo
	v_sub_co_u32 v12, vcc_lo, v12, v3
	s_wait_alu 0xfffd
	s_delay_alu instid0(VALU_DEP_2) | instskip(NEXT) | instid1(VALU_DEP_1)
	v_sub_co_ci_u32_e64 v13, null, v13, v10, vcc_lo
                                        ; implicit-def: $vgpr10_vgpr11
	v_or_b32_e32 v3, s11, v13
	s_delay_alu instid0(VALU_DEP_1)
	v_cmpx_ne_u64_e32 0, v[2:3]
	s_wait_alu 0xfffe
	s_xor_b32 s1, exec_lo, s0
	s_cbranch_execz .LBB3_14
; %bb.13:                               ;   in Loop: Header=BB3_4 Depth=1
	s_cvt_f32_u32 s0, s10
	s_cvt_f32_u32 s2, s11
	s_sub_nc_u64 s[40:41], 0, s[10:11]
	s_wait_alu 0xfffe
	s_delay_alu instid0(SALU_CYCLE_1) | instskip(SKIP_1) | instid1(SALU_CYCLE_2)
	s_fmamk_f32 s0, s2, 0x4f800000, s0
	s_wait_alu 0xfffe
	v_s_rcp_f32 s0, s0
	s_delay_alu instid0(TRANS32_DEP_1) | instskip(SKIP_1) | instid1(SALU_CYCLE_2)
	s_mul_f32 s0, s0, 0x5f7ffffc
	s_wait_alu 0xfffe
	s_mul_f32 s2, s0, 0x2f800000
	s_wait_alu 0xfffe
	s_delay_alu instid0(SALU_CYCLE_2) | instskip(SKIP_1) | instid1(SALU_CYCLE_2)
	s_trunc_f32 s2, s2
	s_wait_alu 0xfffe
	s_fmamk_f32 s0, s2, 0xcf800000, s0
	s_cvt_u32_f32 s39, s2
	s_wait_alu 0xfffe
	s_delay_alu instid0(SALU_CYCLE_1) | instskip(SKIP_1) | instid1(SALU_CYCLE_2)
	s_cvt_u32_f32 s38, s0
	s_wait_alu 0xfffe
	s_mul_u64 s[52:53], s[40:41], s[38:39]
	s_delay_alu instid0(SALU_CYCLE_1)
	s_mul_hi_u32 s55, s38, s53
	s_mul_i32 s54, s38, s53
	s_mul_hi_u32 s2, s38, s52
	s_mul_i32 s37, s39, s52
	s_wait_alu 0xfffe
	s_add_nc_u64 s[54:55], s[2:3], s[54:55]
	s_mul_hi_u32 s0, s39, s52
	s_mul_hi_u32 s56, s39, s53
	s_add_co_u32 s2, s54, s37
	s_wait_alu 0xfffe
	s_add_co_ci_u32 s2, s55, s0
	s_mul_i32 s52, s39, s53
	s_add_co_ci_u32 s53, s56, 0
	s_wait_alu 0xfffe
	s_add_nc_u64 s[52:53], s[2:3], s[52:53]
	s_delay_alu instid0(SALU_CYCLE_1)
	s_add_co_u32 s38, s38, s52
	s_cselect_b32 s0, -1, 0
	s_wait_alu 0xfffe
	s_cmp_lg_u32 s0, 0
	s_add_co_ci_u32 s39, s39, s53
	s_wait_alu 0xfffe
	s_mul_u64 s[40:41], s[40:41], s[38:39]
	s_wait_alu 0xfffe
	s_mul_hi_u32 s53, s38, s41
	s_mul_i32 s52, s38, s41
	s_mul_hi_u32 s2, s38, s40
	s_mul_i32 s37, s39, s40
	s_wait_alu 0xfffe
	s_add_nc_u64 s[52:53], s[2:3], s[52:53]
	s_mul_hi_u32 s0, s39, s40
	s_mul_hi_u32 s54, s39, s41
	s_add_co_u32 s2, s52, s37
	s_wait_alu 0xfffe
	s_add_co_ci_u32 s2, s53, s0
	s_mul_i32 s40, s39, s41
	s_add_co_ci_u32 s41, s54, 0
	s_wait_alu 0xfffe
	s_add_nc_u64 s[40:41], s[2:3], s[40:41]
	s_wait_alu 0xfffe
	s_add_co_u32 s0, s38, s40
	s_cselect_b32 s2, -1, 0
	s_wait_alu 0xfffe
	v_mul_hi_u32 v3, v12, s0
	s_cmp_lg_u32 s2, 0
	v_mad_co_u64_u32 v[18:19], null, v13, s0, 0
	s_add_co_ci_u32 s2, s39, s41
	s_wait_alu 0xfffe
	v_mad_co_u64_u32 v[10:11], null, v12, s2, 0
	v_mad_co_u64_u32 v[20:21], null, v13, s2, 0
	s_delay_alu instid0(VALU_DEP_2) | instskip(SKIP_1) | instid1(VALU_DEP_3)
	v_add_co_u32 v3, vcc_lo, v3, v10
	s_wait_alu 0xfffd
	v_add_co_ci_u32_e64 v10, null, 0, v11, vcc_lo
	s_delay_alu instid0(VALU_DEP_2) | instskip(SKIP_1) | instid1(VALU_DEP_2)
	v_add_co_u32 v3, vcc_lo, v3, v18
	s_wait_alu 0xfffd
	v_add_co_ci_u32_e32 v3, vcc_lo, v10, v19, vcc_lo
	s_wait_alu 0xfffd
	v_add_co_ci_u32_e32 v10, vcc_lo, 0, v21, vcc_lo
	s_delay_alu instid0(VALU_DEP_2) | instskip(SKIP_1) | instid1(VALU_DEP_2)
	v_add_co_u32 v3, vcc_lo, v3, v20
	s_wait_alu 0xfffd
	v_add_co_ci_u32_e64 v15, null, 0, v10, vcc_lo
	s_delay_alu instid0(VALU_DEP_2) | instskip(SKIP_1) | instid1(VALU_DEP_3)
	v_mul_lo_u32 v18, s11, v3
	v_mad_co_u64_u32 v[10:11], null, s10, v3, 0
	v_mul_lo_u32 v19, s10, v15
	s_delay_alu instid0(VALU_DEP_2) | instskip(NEXT) | instid1(VALU_DEP_2)
	v_sub_co_u32 v10, vcc_lo, v12, v10
	v_add3_u32 v11, v11, v19, v18
	s_delay_alu instid0(VALU_DEP_1) | instskip(SKIP_2) | instid1(VALU_DEP_2)
	v_sub_nc_u32_e32 v18, v13, v11
	s_wait_alu 0xfffd
	v_sub_co_ci_u32_e64 v11, null, v13, v11, vcc_lo
	v_subrev_co_ci_u32_e64 v12, null, s11, v18, vcc_lo
	v_add_co_u32 v18, s0, v3, 2
	s_wait_alu 0xf1ff
	v_add_co_ci_u32_e64 v19, null, 0, v15, s0
	v_sub_co_u32 v20, s0, v10, s10
	s_wait_alu 0xf1ff
	v_subrev_co_ci_u32_e64 v12, null, 0, v12, s0
	v_cmp_eq_u32_e64 s0, s11, v11
	s_delay_alu instid0(VALU_DEP_3)
	v_cmp_le_u32_e32 vcc_lo, s10, v20
	s_wait_alu 0xfffd
	v_cndmask_b32_e64 v13, 0, -1, vcc_lo
	v_cmp_le_u32_e32 vcc_lo, s11, v12
	s_wait_alu 0xfffd
	v_cndmask_b32_e64 v20, 0, -1, vcc_lo
	;; [unrolled: 3-line block ×4, first 2 shown]
	v_cmp_eq_u32_e32 vcc_lo, s11, v12
	s_wait_alu 0xf1ff
	s_delay_alu instid0(VALU_DEP_2)
	v_cndmask_b32_e64 v10, v21, v10, s0
	s_wait_alu 0xfffd
	v_cndmask_b32_e32 v12, v20, v13, vcc_lo
	v_add_co_u32 v13, vcc_lo, v3, 1
	s_wait_alu 0xfffd
	v_add_co_ci_u32_e64 v20, null, 0, v15, vcc_lo
	s_delay_alu instid0(VALU_DEP_3) | instskip(SKIP_1) | instid1(VALU_DEP_2)
	v_cmp_ne_u32_e32 vcc_lo, 0, v12
	s_wait_alu 0xfffd
	v_dual_cndmask_b32 v11, v20, v19 :: v_dual_cndmask_b32 v12, v13, v18
	v_cmp_ne_u32_e32 vcc_lo, 0, v10
	s_wait_alu 0xfffd
	s_delay_alu instid0(VALU_DEP_2) | instskip(NEXT) | instid1(VALU_DEP_3)
	v_cndmask_b32_e32 v11, v15, v11, vcc_lo
	v_cndmask_b32_e32 v10, v3, v12, vcc_lo
                                        ; implicit-def: $vgpr12
.LBB3_14:                               ;   in Loop: Header=BB3_4 Depth=1
	s_wait_alu 0xfffe
	s_and_not1_saveexec_b32 s0, s1
	s_cbranch_execz .LBB3_16
; %bb.15:                               ;   in Loop: Header=BB3_4 Depth=1
	v_cvt_f32_u32_e32 v3, s10
	s_sub_co_i32 s1, 0, s10
	s_delay_alu instid0(VALU_DEP_1) | instskip(NEXT) | instid1(TRANS32_DEP_1)
	v_rcp_iflag_f32_e32 v3, v3
	v_mul_f32_e32 v3, 0x4f7ffffe, v3
	s_delay_alu instid0(VALU_DEP_1) | instskip(SKIP_1) | instid1(VALU_DEP_1)
	v_cvt_u32_f32_e32 v3, v3
	s_wait_alu 0xfffe
	v_mul_lo_u32 v10, s1, v3
	s_delay_alu instid0(VALU_DEP_1) | instskip(NEXT) | instid1(VALU_DEP_1)
	v_mul_hi_u32 v10, v3, v10
	v_add_nc_u32_e32 v3, v3, v10
	s_delay_alu instid0(VALU_DEP_1) | instskip(NEXT) | instid1(VALU_DEP_1)
	v_mul_hi_u32 v3, v12, v3
	v_mul_lo_u32 v10, v3, s10
	v_add_nc_u32_e32 v11, 1, v3
	s_delay_alu instid0(VALU_DEP_2) | instskip(NEXT) | instid1(VALU_DEP_1)
	v_sub_nc_u32_e32 v10, v12, v10
	v_subrev_nc_u32_e32 v12, s10, v10
	v_cmp_le_u32_e32 vcc_lo, s10, v10
	s_wait_alu 0xfffd
	s_delay_alu instid0(VALU_DEP_2) | instskip(NEXT) | instid1(VALU_DEP_1)
	v_dual_cndmask_b32 v10, v10, v12 :: v_dual_cndmask_b32 v3, v3, v11
	v_cmp_le_u32_e32 vcc_lo, s10, v10
	s_delay_alu instid0(VALU_DEP_2) | instskip(SKIP_1) | instid1(VALU_DEP_1)
	v_add_nc_u32_e32 v11, 1, v3
	s_wait_alu 0xfffd
	v_dual_cndmask_b32 v10, v3, v11 :: v_dual_mov_b32 v11, v2
.LBB3_16:                               ;   in Loop: Header=BB3_4 Depth=1
	s_wait_alu 0xfffe
	s_or_b32 exec_lo, exec_lo, s0
	v_mul_lo_u32 v3, v7, s26
	v_mul_lo_u32 v12, v6, s27
	v_mad_co_u64_u32 v[6:7], null, v6, s26, 0
	s_mov_b32 s0, exec_lo
	v_add3_u32 v3, v7, v12, v3
	v_sub_co_u32 v6, vcc_lo, v0, v6
	s_wait_alu 0xfffd
	s_delay_alu instid0(VALU_DEP_2) | instskip(NEXT) | instid1(VALU_DEP_2)
	v_sub_co_ci_u32_e64 v3, null, v1, v3, vcc_lo
	v_mul_lo_u32 v7, v6, s45
	v_mad_co_u64_u32 v[12:13], null, v6, s46, 0
	s_delay_alu instid0(VALU_DEP_3) | instskip(NEXT) | instid1(VALU_DEP_2)
	v_mul_lo_u32 v3, v3, s46
	v_sub_co_u32 v6, vcc_lo, v12, s48
	s_delay_alu instid0(VALU_DEP_2) | instskip(SKIP_1) | instid1(VALU_DEP_1)
	v_add3_u32 v13, v13, v7, v3
	s_wait_alu 0xfffd
	v_subrev_co_ci_u32_e64 v7, null, s47, v13, vcc_lo
	s_delay_alu instid0(VALU_DEP_1) | instskip(SKIP_3) | instid1(VALU_DEP_2)
	v_cmp_lt_i64_e32 vcc_lo, 0, v[6:7]
	s_wait_alu 0xfffd
	v_cndmask_b32_e32 v15, 0, v6, vcc_lo
	v_cndmask_b32_e32 v3, 0, v7, vcc_lo
	v_add_co_u32 v18, vcc_lo, v15, s48
	s_wait_alu 0xfffd
	s_delay_alu instid0(VALU_DEP_2) | instskip(NEXT) | instid1(VALU_DEP_1)
	v_add_co_ci_u32_e64 v19, null, s47, v3, vcc_lo
	v_cmp_ne_u64_e32 vcc_lo, v[18:19], v[12:13]
	s_wait_alu 0xfffd
	v_cndmask_b32_e64 v15, 0, 1, vcc_lo
	s_delay_alu instid0(VALU_DEP_1) | instskip(SKIP_2) | instid1(VALU_DEP_2)
	v_add_co_u32 v3, vcc_lo, v12, v15
	s_wait_alu 0xfffd
	v_add_co_ci_u32_e64 v12, null, 0, v13, vcc_lo
	v_sub_co_u32 v18, vcc_lo, v18, v3
	s_wait_alu 0xfffd
	s_delay_alu instid0(VALU_DEP_2) | instskip(NEXT) | instid1(VALU_DEP_1)
	v_sub_co_ci_u32_e64 v19, null, v19, v12, vcc_lo
                                        ; implicit-def: $vgpr12_vgpr13
	v_or_b32_e32 v3, s29, v19
	s_delay_alu instid0(VALU_DEP_1)
	v_cmpx_ne_u64_e32 0, v[2:3]
	s_wait_alu 0xfffe
	s_xor_b32 s1, exec_lo, s0
	s_cbranch_execz .LBB3_18
; %bb.17:                               ;   in Loop: Header=BB3_4 Depth=1
	s_cvt_f32_u32 s0, s28
	s_cvt_f32_u32 s2, s29
	s_sub_nc_u64 s[40:41], 0, s[28:29]
	s_wait_alu 0xfffe
	s_delay_alu instid0(SALU_CYCLE_1) | instskip(SKIP_1) | instid1(SALU_CYCLE_2)
	s_fmamk_f32 s0, s2, 0x4f800000, s0
	s_wait_alu 0xfffe
	v_s_rcp_f32 s0, s0
	s_delay_alu instid0(TRANS32_DEP_1) | instskip(SKIP_1) | instid1(SALU_CYCLE_2)
	s_mul_f32 s0, s0, 0x5f7ffffc
	s_wait_alu 0xfffe
	s_mul_f32 s2, s0, 0x2f800000
	s_wait_alu 0xfffe
	s_delay_alu instid0(SALU_CYCLE_2) | instskip(SKIP_1) | instid1(SALU_CYCLE_2)
	s_trunc_f32 s2, s2
	s_wait_alu 0xfffe
	s_fmamk_f32 s0, s2, 0xcf800000, s0
	s_cvt_u32_f32 s39, s2
	s_wait_alu 0xfffe
	s_delay_alu instid0(SALU_CYCLE_1) | instskip(SKIP_1) | instid1(SALU_CYCLE_2)
	s_cvt_u32_f32 s38, s0
	s_wait_alu 0xfffe
	s_mul_u64 s[52:53], s[40:41], s[38:39]
	s_delay_alu instid0(SALU_CYCLE_1)
	s_mul_hi_u32 s55, s38, s53
	s_mul_i32 s54, s38, s53
	s_mul_hi_u32 s2, s38, s52
	s_mul_i32 s37, s39, s52
	s_wait_alu 0xfffe
	s_add_nc_u64 s[54:55], s[2:3], s[54:55]
	s_mul_hi_u32 s0, s39, s52
	s_mul_hi_u32 s56, s39, s53
	s_add_co_u32 s2, s54, s37
	s_wait_alu 0xfffe
	s_add_co_ci_u32 s2, s55, s0
	s_mul_i32 s52, s39, s53
	s_add_co_ci_u32 s53, s56, 0
	s_wait_alu 0xfffe
	s_add_nc_u64 s[52:53], s[2:3], s[52:53]
	s_delay_alu instid0(SALU_CYCLE_1)
	s_add_co_u32 s38, s38, s52
	s_cselect_b32 s0, -1, 0
	s_wait_alu 0xfffe
	s_cmp_lg_u32 s0, 0
	s_add_co_ci_u32 s39, s39, s53
	s_wait_alu 0xfffe
	s_mul_u64 s[40:41], s[40:41], s[38:39]
	s_wait_alu 0xfffe
	s_mul_hi_u32 s53, s38, s41
	s_mul_i32 s52, s38, s41
	s_mul_hi_u32 s2, s38, s40
	s_mul_i32 s37, s39, s40
	s_wait_alu 0xfffe
	s_add_nc_u64 s[52:53], s[2:3], s[52:53]
	s_mul_hi_u32 s0, s39, s40
	s_mul_hi_u32 s54, s39, s41
	s_add_co_u32 s2, s52, s37
	s_wait_alu 0xfffe
	s_add_co_ci_u32 s2, s53, s0
	s_mul_i32 s40, s39, s41
	s_add_co_ci_u32 s41, s54, 0
	s_wait_alu 0xfffe
	s_add_nc_u64 s[40:41], s[2:3], s[40:41]
	s_wait_alu 0xfffe
	s_add_co_u32 s0, s38, s40
	s_cselect_b32 s2, -1, 0
	s_wait_alu 0xfffe
	v_mul_hi_u32 v3, v18, s0
	s_cmp_lg_u32 s2, 0
	v_mad_co_u64_u32 v[20:21], null, v19, s0, 0
	s_add_co_ci_u32 s2, s39, s41
	s_wait_alu 0xfffe
	v_mad_co_u64_u32 v[12:13], null, v18, s2, 0
	v_mad_co_u64_u32 v[22:23], null, v19, s2, 0
	s_delay_alu instid0(VALU_DEP_2) | instskip(SKIP_1) | instid1(VALU_DEP_3)
	v_add_co_u32 v3, vcc_lo, v3, v12
	s_wait_alu 0xfffd
	v_add_co_ci_u32_e64 v12, null, 0, v13, vcc_lo
	s_delay_alu instid0(VALU_DEP_2) | instskip(SKIP_1) | instid1(VALU_DEP_2)
	v_add_co_u32 v3, vcc_lo, v3, v20
	s_wait_alu 0xfffd
	v_add_co_ci_u32_e32 v3, vcc_lo, v12, v21, vcc_lo
	s_wait_alu 0xfffd
	v_add_co_ci_u32_e32 v12, vcc_lo, 0, v23, vcc_lo
	s_delay_alu instid0(VALU_DEP_2) | instskip(SKIP_1) | instid1(VALU_DEP_2)
	v_add_co_u32 v3, vcc_lo, v3, v22
	s_wait_alu 0xfffd
	v_add_co_ci_u32_e64 v20, null, 0, v12, vcc_lo
	s_delay_alu instid0(VALU_DEP_2) | instskip(SKIP_1) | instid1(VALU_DEP_3)
	v_mul_lo_u32 v21, s29, v3
	v_mad_co_u64_u32 v[12:13], null, s28, v3, 0
	v_mul_lo_u32 v22, s28, v20
	s_delay_alu instid0(VALU_DEP_2) | instskip(NEXT) | instid1(VALU_DEP_2)
	v_sub_co_u32 v12, vcc_lo, v18, v12
	v_add3_u32 v13, v13, v22, v21
	s_delay_alu instid0(VALU_DEP_1) | instskip(SKIP_2) | instid1(VALU_DEP_2)
	v_sub_nc_u32_e32 v21, v19, v13
	s_wait_alu 0xfffd
	v_sub_co_ci_u32_e64 v13, null, v19, v13, vcc_lo
	v_subrev_co_ci_u32_e64 v18, null, s29, v21, vcc_lo
	v_add_co_u32 v21, s0, v3, 2
	s_wait_alu 0xf1ff
	v_add_co_ci_u32_e64 v22, null, 0, v20, s0
	v_sub_co_u32 v23, s0, v12, s28
	s_wait_alu 0xf1ff
	v_subrev_co_ci_u32_e64 v18, null, 0, v18, s0
	v_cmp_eq_u32_e64 s0, s29, v13
	s_delay_alu instid0(VALU_DEP_3)
	v_cmp_le_u32_e32 vcc_lo, s28, v23
	s_wait_alu 0xfffd
	v_cndmask_b32_e64 v19, 0, -1, vcc_lo
	v_cmp_le_u32_e32 vcc_lo, s29, v18
	s_wait_alu 0xfffd
	v_cndmask_b32_e64 v23, 0, -1, vcc_lo
	;; [unrolled: 3-line block ×4, first 2 shown]
	v_cmp_eq_u32_e32 vcc_lo, s29, v18
	s_wait_alu 0xf1ff
	s_delay_alu instid0(VALU_DEP_2)
	v_cndmask_b32_e64 v12, v24, v12, s0
	s_wait_alu 0xfffd
	v_cndmask_b32_e32 v18, v23, v19, vcc_lo
	v_add_co_u32 v19, vcc_lo, v3, 1
	s_wait_alu 0xfffd
	v_add_co_ci_u32_e64 v23, null, 0, v20, vcc_lo
	s_delay_alu instid0(VALU_DEP_3) | instskip(SKIP_1) | instid1(VALU_DEP_2)
	v_cmp_ne_u32_e32 vcc_lo, 0, v18
	s_wait_alu 0xfffd
	v_cndmask_b32_e32 v13, v23, v22, vcc_lo
	v_cndmask_b32_e32 v18, v19, v21, vcc_lo
	v_cmp_ne_u32_e32 vcc_lo, 0, v12
	s_wait_alu 0xfffd
	s_delay_alu instid0(VALU_DEP_2)
	v_dual_cndmask_b32 v13, v20, v13 :: v_dual_cndmask_b32 v12, v3, v18
                                        ; implicit-def: $vgpr18
.LBB3_18:                               ;   in Loop: Header=BB3_4 Depth=1
	s_wait_alu 0xfffe
	s_and_not1_saveexec_b32 s0, s1
	s_cbranch_execz .LBB3_20
; %bb.19:                               ;   in Loop: Header=BB3_4 Depth=1
	v_cvt_f32_u32_e32 v3, s28
	s_sub_co_i32 s1, 0, s28
	s_delay_alu instid0(VALU_DEP_1) | instskip(NEXT) | instid1(TRANS32_DEP_1)
	v_rcp_iflag_f32_e32 v3, v3
	v_mul_f32_e32 v3, 0x4f7ffffe, v3
	s_delay_alu instid0(VALU_DEP_1) | instskip(SKIP_1) | instid1(VALU_DEP_1)
	v_cvt_u32_f32_e32 v3, v3
	s_wait_alu 0xfffe
	v_mul_lo_u32 v12, s1, v3
	s_delay_alu instid0(VALU_DEP_1) | instskip(NEXT) | instid1(VALU_DEP_1)
	v_mul_hi_u32 v12, v3, v12
	v_add_nc_u32_e32 v3, v3, v12
	s_delay_alu instid0(VALU_DEP_1) | instskip(NEXT) | instid1(VALU_DEP_1)
	v_mul_hi_u32 v3, v18, v3
	v_mul_lo_u32 v12, v3, s28
	v_add_nc_u32_e32 v13, 1, v3
	s_delay_alu instid0(VALU_DEP_2) | instskip(NEXT) | instid1(VALU_DEP_1)
	v_sub_nc_u32_e32 v12, v18, v12
	v_subrev_nc_u32_e32 v18, s28, v12
	v_cmp_le_u32_e32 vcc_lo, s28, v12
	s_wait_alu 0xfffd
	s_delay_alu instid0(VALU_DEP_2) | instskip(NEXT) | instid1(VALU_DEP_1)
	v_dual_cndmask_b32 v12, v12, v18 :: v_dual_cndmask_b32 v3, v3, v13
	v_cmp_le_u32_e32 vcc_lo, s28, v12
	s_delay_alu instid0(VALU_DEP_2) | instskip(SKIP_1) | instid1(VALU_DEP_1)
	v_add_nc_u32_e32 v13, 1, v3
	s_wait_alu 0xfffd
	v_dual_cndmask_b32 v12, v3, v13 :: v_dual_mov_b32 v13, v2
.LBB3_20:                               ;   in Loop: Header=BB3_4 Depth=1
	s_wait_alu 0xfffe
	s_or_b32 exec_lo, exec_lo, s0
	v_add_co_u32 v3, vcc_lo, v10, v14
	s_wait_alu 0xfffd
	v_add_co_ci_u32_e64 v10, null, 0, v11, vcc_lo
	v_add_co_u32 v12, vcc_lo, v12, v15
	s_wait_alu 0xfffd
	v_add_co_ci_u32_e64 v13, null, 0, v13, vcc_lo
	v_mul_lo_u32 v11, v3, s7
	v_mul_lo_u32 v14, v10, s6
	v_mad_co_u64_u32 v[9:10], null, v3, s6, v[8:9]
	v_mul_lo_u32 v3, v12, s9
	v_mul_lo_u32 v15, v13, s8
	v_mad_co_u64_u32 v[12:13], null, v12, s8, v[6:7]
	s_mov_b32 s37, exec_lo
	v_add3_u32 v7, v14, v10, v11
	v_mov_b32_e32 v10, 0
	v_mov_b32_e32 v11, 0xfff00000
	v_add3_u32 v13, v15, v13, v3
	v_add_nc_u32_e32 v3, s49, v8
	v_mul_lo_u32 v14, v7, s18
	s_delay_alu instid0(VALU_DEP_3) | instskip(SKIP_1) | instid1(VALU_DEP_4)
	v_mad_co_u64_u32 v[7:8], null, v9, s18, v[12:13]
	v_mul_lo_u32 v13, v9, s19
	v_min_i32_e32 v18, s16, v3
	s_delay_alu instid0(VALU_DEP_2) | instskip(NEXT) | instid1(VALU_DEP_2)
	v_add3_u32 v8, v14, v8, v13
	v_cmpx_gt_i32_e64 v18, v9
	s_cbranch_execz .LBB3_3
; %bb.21:                               ;   in Loop: Header=BB3_4 Depth=1
	v_mad_co_u64_u32 v[14:15], null, s30, v4, s[14:15]
	v_mul_lo_u32 v5, s30, v5
	v_mul_lo_u32 v4, s31, v4
	v_dual_mov_b32 v10, 0 :: v_dual_add_nc_u32 v3, s50, v6
	v_mov_b32_e32 v11, 0xfff00000
	s_mov_b32 s38, 0
	s_delay_alu instid0(VALU_DEP_2) | instskip(SKIP_2) | instid1(VALU_DEP_3)
	v_min_i32_e32 v19, s18, v3
	v_ashrrev_i32_e32 v3, 31, v9
	v_add3_u32 v15, v4, v15, v5
	v_cmp_gt_i32_e32 vcc_lo, v19, v12
	s_branch .LBB3_23
.LBB3_22:                               ;   in Loop: Header=BB3_23 Depth=2
	s_wait_alu 0xfffe
	s_or_b32 exec_lo, exec_lo, s39
	v_add_nc_u32_e32 v9, s24, v9
	s_delay_alu instid0(VALU_DEP_1)
	v_cmp_ge_i32_e64 s0, v9, v18
	v_ashrrev_i32_e32 v3, 31, v9
	s_or_b32 s38, s0, s38
	s_wait_alu 0xfffe
	s_and_not1_b32 exec_lo, exec_lo, s38
	s_cbranch_execz .LBB3_2
.LBB3_23:                               ;   Parent Loop BB3_4 Depth=1
                                        ; =>  This Loop Header: Depth=2
                                        ;       Child Loop BB3_25 Depth 3
	s_and_saveexec_b32 s39, vcc_lo
	s_cbranch_execz .LBB3_22
; %bb.24:                               ;   in Loop: Header=BB3_23 Depth=2
	v_ashrrev_i32_e32 v13, 31, v12
	v_mul_lo_u32 v5, v9, s19
	v_mul_lo_u32 v6, v3, s18
	s_mov_b32 s40, 0
	s_delay_alu instid0(VALU_DEP_3) | instskip(SKIP_1) | instid1(VALU_DEP_2)
	v_mad_co_u64_u32 v[3:4], null, v9, s18, v[12:13]
	v_mov_b32_e32 v13, v12
	v_add3_u32 v4, v6, v4, v5
	s_delay_alu instid0(VALU_DEP_1) | instskip(NEXT) | instid1(VALU_DEP_1)
	v_lshlrev_b64_e32 v[5:6], 3, v[3:4]
	v_add_co_u32 v5, s0, v14, v5
	s_wait_alu 0xf1ff
	s_delay_alu instid0(VALU_DEP_2)
	v_add_co_ci_u32_e64 v6, null, v15, v6, s0
.LBB3_25:                               ;   Parent Loop BB3_4 Depth=1
                                        ;     Parent Loop BB3_23 Depth=2
                                        ; =>    This Inner Loop Header: Depth=3
	global_load_b64 v[20:21], v[5:6], off
	v_add_nc_u32_e32 v13, s25, v13
	v_add_co_u32 v5, s2, v5, s34
	s_wait_alu 0xf1ff
	v_add_co_ci_u32_e64 v6, null, s35, v6, s2
	s_delay_alu instid0(VALU_DEP_3)
	v_cmp_ge_i32_e64 s2, v13, v19
	s_wait_loadcnt 0x0
	v_cmp_gt_f64_e64 s0, v[20:21], v[10:11]
	v_cmp_u_f64_e64 s1, v[20:21], v[20:21]
	s_or_b32 s0, s0, s1
	s_wait_alu 0xfffe
	s_or_b32 s40, s2, s40
	v_cndmask_b32_e64 v11, v11, v21, s0
	v_cndmask_b32_e64 v10, v10, v20, s0
	;; [unrolled: 1-line block ×4, first 2 shown]
	v_add_co_u32 v3, s0, v3, s8
	s_wait_alu 0xf1ff
	v_add_co_ci_u32_e64 v4, null, s9, v4, s0
	s_wait_alu 0xfffe
	s_and_not1_b32 exec_lo, exec_lo, s40
	s_cbranch_execnz .LBB3_25
; %bb.26:                               ;   in Loop: Header=BB3_23 Depth=2
	s_or_b32 exec_lo, exec_lo, s40
	s_branch .LBB3_22
.LBB3_27:
	s_endpgm
	.section	.rodata,"a",@progbits
	.p2align	6, 0x0
	.amdhsa_kernel _ZN2at6native12_GLOBAL__N_121max_pool_forward_nchwIdlEEvT0_PKT_llliiiiiiiiiiPS4_Pl
		.amdhsa_group_segment_fixed_size 0
		.amdhsa_private_segment_fixed_size 0
		.amdhsa_kernarg_size 352
		.amdhsa_user_sgpr_count 2
		.amdhsa_user_sgpr_dispatch_ptr 0
		.amdhsa_user_sgpr_queue_ptr 0
		.amdhsa_user_sgpr_kernarg_segment_ptr 1
		.amdhsa_user_sgpr_dispatch_id 0
		.amdhsa_user_sgpr_private_segment_size 0
		.amdhsa_wavefront_size32 1
		.amdhsa_uses_dynamic_stack 0
		.amdhsa_enable_private_segment 0
		.amdhsa_system_sgpr_workgroup_id_x 1
		.amdhsa_system_sgpr_workgroup_id_y 0
		.amdhsa_system_sgpr_workgroup_id_z 0
		.amdhsa_system_sgpr_workgroup_info 0
		.amdhsa_system_vgpr_workitem_id 0
		.amdhsa_next_free_vgpr 25
		.amdhsa_next_free_sgpr 60
		.amdhsa_reserve_vcc 1
		.amdhsa_float_round_mode_32 0
		.amdhsa_float_round_mode_16_64 0
		.amdhsa_float_denorm_mode_32 3
		.amdhsa_float_denorm_mode_16_64 3
		.amdhsa_fp16_overflow 0
		.amdhsa_workgroup_processor_mode 1
		.amdhsa_memory_ordered 1
		.amdhsa_forward_progress 1
		.amdhsa_inst_pref_size 40
		.amdhsa_round_robin_scheduling 0
		.amdhsa_exception_fp_ieee_invalid_op 0
		.amdhsa_exception_fp_denorm_src 0
		.amdhsa_exception_fp_ieee_div_zero 0
		.amdhsa_exception_fp_ieee_overflow 0
		.amdhsa_exception_fp_ieee_underflow 0
		.amdhsa_exception_fp_ieee_inexact 0
		.amdhsa_exception_int_div_zero 0
	.end_amdhsa_kernel
	.section	.text._ZN2at6native12_GLOBAL__N_121max_pool_forward_nchwIdlEEvT0_PKT_llliiiiiiiiiiPS4_Pl,"axG",@progbits,_ZN2at6native12_GLOBAL__N_121max_pool_forward_nchwIdlEEvT0_PKT_llliiiiiiiiiiPS4_Pl,comdat
.Lfunc_end3:
	.size	_ZN2at6native12_GLOBAL__N_121max_pool_forward_nchwIdlEEvT0_PKT_llliiiiiiiiiiPS4_Pl, .Lfunc_end3-_ZN2at6native12_GLOBAL__N_121max_pool_forward_nchwIdlEEvT0_PKT_llliiiiiiiiiiPS4_Pl
                                        ; -- End function
	.set _ZN2at6native12_GLOBAL__N_121max_pool_forward_nchwIdlEEvT0_PKT_llliiiiiiiiiiPS4_Pl.num_vgpr, 25
	.set _ZN2at6native12_GLOBAL__N_121max_pool_forward_nchwIdlEEvT0_PKT_llliiiiiiiiiiPS4_Pl.num_agpr, 0
	.set _ZN2at6native12_GLOBAL__N_121max_pool_forward_nchwIdlEEvT0_PKT_llliiiiiiiiiiPS4_Pl.numbered_sgpr, 60
	.set _ZN2at6native12_GLOBAL__N_121max_pool_forward_nchwIdlEEvT0_PKT_llliiiiiiiiiiPS4_Pl.num_named_barrier, 0
	.set _ZN2at6native12_GLOBAL__N_121max_pool_forward_nchwIdlEEvT0_PKT_llliiiiiiiiiiPS4_Pl.private_seg_size, 0
	.set _ZN2at6native12_GLOBAL__N_121max_pool_forward_nchwIdlEEvT0_PKT_llliiiiiiiiiiPS4_Pl.uses_vcc, 1
	.set _ZN2at6native12_GLOBAL__N_121max_pool_forward_nchwIdlEEvT0_PKT_llliiiiiiiiiiPS4_Pl.uses_flat_scratch, 0
	.set _ZN2at6native12_GLOBAL__N_121max_pool_forward_nchwIdlEEvT0_PKT_llliiiiiiiiiiPS4_Pl.has_dyn_sized_stack, 0
	.set _ZN2at6native12_GLOBAL__N_121max_pool_forward_nchwIdlEEvT0_PKT_llliiiiiiiiiiPS4_Pl.has_recursion, 0
	.set _ZN2at6native12_GLOBAL__N_121max_pool_forward_nchwIdlEEvT0_PKT_llliiiiiiiiiiPS4_Pl.has_indirect_call, 0
	.section	.AMDGPU.csdata,"",@progbits
; Kernel info:
; codeLenInByte = 5092
; TotalNumSgprs: 62
; NumVgprs: 25
; ScratchSize: 0
; MemoryBound: 0
; FloatMode: 240
; IeeeMode: 1
; LDSByteSize: 0 bytes/workgroup (compile time only)
; SGPRBlocks: 0
; VGPRBlocks: 3
; NumSGPRsForWavesPerEU: 62
; NumVGPRsForWavesPerEU: 25
; Occupancy: 16
; WaveLimiterHint : 0
; COMPUTE_PGM_RSRC2:SCRATCH_EN: 0
; COMPUTE_PGM_RSRC2:USER_SGPR: 2
; COMPUTE_PGM_RSRC2:TRAP_HANDLER: 0
; COMPUTE_PGM_RSRC2:TGID_X_EN: 1
; COMPUTE_PGM_RSRC2:TGID_Y_EN: 0
; COMPUTE_PGM_RSRC2:TGID_Z_EN: 0
; COMPUTE_PGM_RSRC2:TIDIG_COMP_CNT: 0
	.section	.text._ZN2at6native12_GLOBAL__N_121max_pool_forward_nhwcIfiEEvPKT_iT0_S6_S6_S6_S6_iiiiiiiiS6_S6_S6_S6_iiPS3_Pl,"axG",@progbits,_ZN2at6native12_GLOBAL__N_121max_pool_forward_nhwcIfiEEvPKT_iT0_S6_S6_S6_S6_iiiiiiiiS6_S6_S6_S6_iiPS3_Pl,comdat
	.globl	_ZN2at6native12_GLOBAL__N_121max_pool_forward_nhwcIfiEEvPKT_iT0_S6_S6_S6_S6_iiiiiiiiS6_S6_S6_S6_iiPS3_Pl ; -- Begin function _ZN2at6native12_GLOBAL__N_121max_pool_forward_nhwcIfiEEvPKT_iT0_S6_S6_S6_S6_iiiiiiiiS6_S6_S6_S6_iiPS3_Pl
	.p2align	8
	.type	_ZN2at6native12_GLOBAL__N_121max_pool_forward_nhwcIfiEEvPKT_iT0_S6_S6_S6_S6_iiiiiiiiS6_S6_S6_S6_iiPS3_Pl,@function
_ZN2at6native12_GLOBAL__N_121max_pool_forward_nhwcIfiEEvPKT_iT0_S6_S6_S6_S6_iiiiiiiiS6_S6_S6_S6_iiPS3_Pl: ; @_ZN2at6native12_GLOBAL__N_121max_pool_forward_nhwcIfiEEvPKT_iT0_S6_S6_S6_S6_iiiiiiiiS6_S6_S6_S6_iiPS3_Pl
; %bb.0:
	s_clause 0x1
	s_load_b128 s[4:7], s[0:1], 0x6c
	s_load_b128 s[24:27], s[0:1], 0x48
	v_bfe_u32 v3, v0, 10, 10
	v_bfe_u32 v1, v0, 20, 10
	v_and_b32_e32 v6, 0x3ff, v0
	s_mov_b32 s3, exec_lo
	s_wait_kmcnt 0x0
	s_lshr_b32 s30, s6, 16
	s_and_b32 s36, s6, 0xffff
	v_mad_u32_u24 v7, v1, s30, v3
	s_mul_i32 s6, s27, s36
	s_and_b32 s31, s7, 0xffff
	s_mul_i32 s2, s6, s30
	s_wait_alu 0xfffe
	s_mul_i32 s2, s2, s31
	v_mad_co_u64_u32 v[4:5], null, v7, s36, v[6:7]
	s_delay_alu instid0(VALU_DEP_1)
	v_cmpx_gt_u32_e64 s2, v4
	s_cbranch_execz .LBB4_3
; %bb.1:
	s_mul_i32 s7, s30, s36
	v_lshl_add_u32 v0, v4, 2, 0
	v_dual_mov_b32 v2, 0xff800000 :: v_dual_mov_b32 v5, 0
	s_mul_i32 s7, s7, s31
	s_lshl_b32 s8, s2, 2
	s_mov_b32 s9, 0
	s_lshl_b32 s10, s7, 2
.LBB4_2:                                ; =>This Inner Loop Header: Depth=1
	v_add_nc_u32_e32 v4, s7, v4
	v_add_nc_u32_e32 v8, s8, v0
	ds_store_b32 v0, v5
	v_add_nc_u32_e32 v0, s10, v0
	v_cmp_le_u32_e32 vcc_lo, s2, v4
	ds_store_b32 v8, v2
	s_or_b32 s9, vcc_lo, s9
	s_wait_alu 0xfffe
	s_and_not1_b32 exec_lo, exec_lo, s9
	s_cbranch_execnz .LBB4_2
.LBB4_3:
	s_or_b32 exec_lo, exec_lo, s3
	s_cvt_f32_u32 s3, s5
	s_load_b512 s[8:23], s[0:1], 0x8
	s_sub_co_i32 s7, 0, s5
	s_wait_dscnt 0x0
	v_rcp_iflag_f32_e32 v0, s3
	s_barrier_signal -1
	s_barrier_wait -1
	global_inv scope:SCOPE_SE
	v_readfirstlane_b32 s3, v0
	s_mul_f32 s3, s3, 0x4f7ffffe
	s_wait_kmcnt 0x0
	s_add_co_i32 s28, s12, s5
	s_delay_alu instid0(SALU_CYCLE_1) | instskip(SKIP_3) | instid1(SALU_CYCLE_2)
	s_add_co_i32 s28, s28, -1
	s_wait_alu 0xfffe
	s_cvt_u32_f32 s3, s3
	s_wait_alu 0xfffe
	s_mul_i32 s7, s7, s3
	s_wait_alu 0xfffe
	s_mul_hi_u32 s7, s3, s7
	s_wait_alu 0xfffe
	s_add_co_i32 s3, s3, s7
	s_wait_alu 0xfffe
	s_mul_hi_u32 s3, s28, s3
	s_wait_alu 0xfffe
	s_mul_i32 s7, s3, s5
	s_wait_alu 0xfffe
	s_sub_co_i32 s7, s28, s7
	s_add_co_i32 s28, s3, 1
	s_wait_alu 0xfffe
	s_sub_co_i32 s29, s7, s5
	s_cmp_ge_u32 s7, s5
	s_cselect_b32 s3, s28, s3
	s_cselect_b32 s7, s29, s7
	s_wait_alu 0xfffe
	s_add_co_i32 s28, s3, 1
	s_cmp_ge_u32 s7, s5
	s_cvt_f32_u32 s7, s4
	s_cselect_b32 s3, s28, s3
	s_lshr_b32 s5, ttmp7, 16
	s_mov_b32 s29, 0
	s_wait_alu 0xfffe
	v_mad_co_u64_u32 v[0:1], null, s3, s5, v[1:2]
	s_cvt_f32_u32 s5, s8
	v_rcp_iflag_f32_e32 v2, s7
	s_mov_b32 s7, exec_lo
	s_wait_alu 0xfffe
	v_rcp_iflag_f32_e32 v1, s5
	v_add_nc_u32_e32 v4, s3, v0
	s_delay_alu instid0(TRANS32_DEP_2) | instskip(NEXT) | instid1(VALU_DEP_2)
	v_readfirstlane_b32 s3, v2
	v_min_i32_e32 v14, s12, v4
	s_delay_alu instid0(TRANS32_DEP_1) | instskip(NEXT) | instid1(VALU_DEP_2)
	v_readfirstlane_b32 s5, v1
	v_cmpx_lt_i32_e64 v0, v14
	s_cbranch_execz .LBB4_74
; %bb.4:
	s_mul_f32 s5, s5, 0x4f7ffffe
	s_mul_f32 s3, s3, 0x4f7ffffe
	s_sub_co_i32 s33, 0, s8
	s_sub_co_i32 s38, 0, s4
	s_wait_alu 0xfffe
	s_cvt_u32_f32 s5, s5
	s_cvt_u32_f32 s3, s3
	s_mov_b32 s28, ttmp9
	s_mov_b32 s35, s29
	s_wait_alu 0xfffe
	s_mul_i32 s33, s33, s5
	s_mul_i32 s38, s38, s3
	s_mul_hi_u32 s33, s5, s33
	s_lshl_b32 s2, s2, 2
	s_add_co_i32 s34, s5, s33
	s_mul_hi_u32 s5, s3, s38
	s_mul_u64 s[34:35], s[28:29], s[34:35]
	s_wait_alu 0xfffe
	s_add_co_i32 s42, s2, 0
	s_add_co_i32 s2, s3, s5
	s_mul_i32 s3, s35, s8
	s_add_co_i32 s37, s13, s4
	s_wait_alu 0xfffe
	s_sub_co_i32 s5, ttmp9, s3
	s_and_b32 s7, ttmp7, 0xffff
	s_add_co_i32 s28, s37, -1
	s_add_co_i32 s33, s35, 1
	s_wait_alu 0xfffe
	s_sub_co_i32 s34, s5, s8
	s_cmp_ge_u32 s5, s8
	s_mov_b32 s3, s29
	s_cselect_b32 s33, s33, s35
	s_cselect_b32 s5, s34, s5
	s_add_co_i32 s37, s33, 1
	s_wait_alu 0xfffe
	s_cmp_ge_u32 s5, s8
	s_mul_u64 s[34:35], s[28:29], s[2:3]
	s_cselect_b32 s5, s37, s33
	s_mul_i32 s2, s12, s9
	s_wait_alu 0xfffe
	s_mul_i32 s3, s5, s8
	s_mul_i32 s2, s2, s13
	s_wait_alu 0xfffe
	s_sub_co_i32 s3, ttmp9, s3
	s_mul_i32 s8, s35, s4
	s_wait_alu 0xfffe
	s_mul_i32 s38, s3, s22
	s_mul_i32 s2, s2, s3
	s_ashr_i32 s39, s38, 31
	s_sub_co_i32 s8, s28, s8
	s_wait_alu 0xfffe
	s_ashr_i32 s3, s2, 31
	s_lshl_b64 s[38:39], s[38:39], 2
	s_add_co_i32 s12, s35, 1
	s_sub_co_i32 s22, s8, s4
	s_cmp_ge_u32 s8, s4
	v_mad_co_u64_u32 v[1:2], null, s5, s36, v[6:7]
	s_wait_alu 0xfffe
	s_cselect_b32 s12, s12, s35
	s_cselect_b32 s8, s22, s8
	s_wait_alu 0xfffe
	s_add_co_i32 s22, s12, 1
	s_cmp_ge_u32 s8, s4
	s_load_b64 s[40:41], s[0:1], 0x0
	s_cselect_b32 s4, s22, s12
	s_add_co_i32 s5, s14, -1
	s_mul_i32 s12, s26, s36
	s_wait_alu 0xfffe
	s_mul_i32 s8, s20, s5
	s_add_co_i32 s5, s15, -1
	s_wait_alu 0xfffe
	s_add_co_i32 s8, s8, 1
	s_mul_i32 s28, s21, s5
	s_max_i32 s5, s14, s15
	s_add_co_i32 s28, s28, 1
	s_wait_alu 0xfffe
	s_cmp_lt_i32 s5, 4
	v_mad_co_u64_u32 v[3:4], null, s4, s7, v[3:4]
	s_cselect_b32 s22, -1, 0
	s_cmp_le_u32 s9, s12
	v_mul_lo_u32 v4, v1, s23
	s_cselect_b32 s33, -1, 0
	s_max_u32 s26, s20, 1
	v_mul_lo_u32 v2, s6, v7
	s_cvt_f32_u32 s5, s26
	v_dual_mov_b32 v27, 0xff800000 :: v_dual_add_nc_u32 v8, s4, v3
	s_and_b32 s33, s22, s33
	s_wait_alu 0xfffe
	v_rcp_iflag_f32_e32 v10, s5
	v_ashrrev_i32_e32 v5, 31, v4
	v_min_i32_e32 v15, s13, v8
	s_load_b128 s[4:7], s[0:1], 0x58
	v_lshlrev_b32_e32 v6, 2, v6
	s_mul_i32 s35, s30, s31
	v_lshlrev_b64_e32 v[8:9], 2, v[4:5]
	v_dual_mov_b32 v28, 0 :: v_dual_lshlrev_b32 v5, 2, v7
	v_lshlrev_b32_e32 v2, 2, v2
	s_delay_alu instid0(TRANS32_DEP_1) | instskip(SKIP_1) | instid1(VALU_DEP_4)
	v_readfirstlane_b32 s22, v10
	v_add_nc_u32_e32 v18, 0, v6
	v_lshl_add_u32 v5, s35, 2, v5
	s_sub_co_i32 s35, 0, s26
	v_add3_u32 v19, s42, v2, v6
	s_mul_f32 s22, s22, 0x4f7ffffe
	v_add_nc_u32_e32 v20, v18, v2
	v_mul_lo_u32 v5, s27, v5
	v_ashrrev_i32_e32 v2, 31, v1
	s_wait_alu 0xfffe
	s_cvt_u32_f32 s22, s22
	v_mul_lo_u32 v7, s27, v7
	s_wait_kmcnt 0x0
	s_add_nc_u64 s[14:15], s[40:41], s[38:39]
	v_cmp_lt_i32_e64 s0, v3, v15
	s_wait_alu 0xfffe
	s_mul_i32 s35, s35, s22
	v_add_co_u32 v16, vcc_lo, s14, v8
	s_wait_alu 0xfffe
	s_mul_hi_u32 s27, s22, s35
	v_mul_lo_u32 v21, v5, s36
	v_lshlrev_b64_e32 v[5:6], 2, v[1:2]
	s_wait_alu 0xfffe
	s_add_co_i32 s27, s22, s27
	s_mul_i32 s35, s12, s23
	s_lshl_b64 s[22:23], s[2:3], 2
	v_add_co_ci_u32_e64 v17, null, s15, v9, vcc_lo
	s_wait_alu 0xfffe
	s_add_nc_u64 s[4:5], s[4:5], s[22:23]
	v_mul_lo_u32 v9, v7, s36
	v_mad_co_u64_u32 v[7:8], null, s13, v0, v[3:4]
	s_wait_alu 0xfffe
	v_add_co_u32 v23, vcc_lo, s4, v5
	s_wait_alu 0xfffd
	v_add_co_ci_u32_e64 v24, null, s5, v6, vcc_lo
	v_lshlrev_b64_e32 v[5:6], 3, v[1:2]
	s_lshl_b64 s[2:3], s[2:3], 3
	s_delay_alu instid0(VALU_DEP_4)
	v_mul_lo_u32 v25, s9, v7
	s_wait_alu 0xfffe
	s_add_nc_u64 s[2:3], s[6:7], s[2:3]
	v_cmp_gt_i32_e64 s1, s9, v1
	v_lshlrev_b32_e32 v22, 2, v9
	s_wait_alu 0xfffe
	v_add_co_u32 v2, vcc_lo, s2, v5
	s_wait_alu 0xfffd
	v_add_co_ci_u32_e64 v26, null, s3, v6, vcc_lo
	s_mul_i32 s37, s13, s9
	s_ashr_i32 s13, s12, 31
	s_lshl_b32 s34, s21, 1
	s_lshl_b32 s36, s36, 2
	s_wait_alu 0xfffe
	s_mul_i32 s37, s37, s31
	s_mul_i32 s38, s9, s30
	s_lshl_b64 s[6:7], s[12:13], 2
	s_lshl_b64 s[22:23], s[12:13], 3
	s_branch .LBB4_6
.LBB4_5:                                ;   in Loop: Header=BB4_6 Depth=1
	s_wait_alu 0xfffe
	s_or_b32 exec_lo, exec_lo, s13
	v_add_nc_u32_e32 v0, s31, v0
	v_add_nc_u32_e32 v25, s37, v25
	s_delay_alu instid0(VALU_DEP_2)
	v_cmp_ge_i32_e32 vcc_lo, v0, v14
	s_or_b32 s29, vcc_lo, s29
	s_wait_alu 0xfffe
	s_and_not1_b32 exec_lo, exec_lo, s29
	s_cbranch_execz .LBB4_74
.LBB4_6:                                ; =>This Loop Header: Depth=1
                                        ;     Child Loop BB4_9 Depth 2
                                        ;       Child Loop BB4_10 Depth 3
                                        ;       Child Loop BB4_63 Depth 3
                                        ;         Child Loop BB4_66 Depth 4
                                        ;           Child Loop BB4_69 Depth 5
                                        ;       Child Loop BB4_73 Depth 3
	s_and_saveexec_b32 s13, s0
	s_cbranch_execz .LBB4_5
; %bb.7:                                ;   in Loop: Header=BB4_6 Depth=1
	v_mul_lo_u32 v5, v0, s16
	v_mov_b32_e32 v30, v3
	s_mov_b32 s39, 0
	v_mov_b32_e32 v7, v25
	s_delay_alu instid0(VALU_DEP_3) | instskip(NEXT) | instid1(VALU_DEP_1)
	v_subrev_nc_u32_e32 v5, s18, v5
	v_add_nc_u32_e32 v6, s8, v5
	s_delay_alu instid0(VALU_DEP_1)
	v_min_i32_e32 v29, s10, v6
	s_branch .LBB4_9
.LBB4_8:                                ;   in Loop: Header=BB4_9 Depth=2
	s_wait_alu 0xfffe
	s_or_b32 exec_lo, exec_lo, s3
	v_add_nc_u32_e32 v30, s30, v30
	v_add_nc_u32_e32 v7, s38, v7
	s_delay_alu instid0(VALU_DEP_2)
	v_cmp_ge_i32_e32 vcc_lo, v30, v15
	s_or_b32 s39, vcc_lo, s39
	s_wait_alu 0xfffe
	s_and_not1_b32 exec_lo, exec_lo, s39
	s_cbranch_execz .LBB4_5
.LBB4_9:                                ;   Parent Loop BB4_6 Depth=1
                                        ; =>  This Loop Header: Depth=2
                                        ;       Child Loop BB4_10 Depth 3
                                        ;       Child Loop BB4_63 Depth 3
                                        ;         Child Loop BB4_66 Depth 4
                                        ;           Child Loop BB4_69 Depth 5
                                        ;       Child Loop BB4_73 Depth 3
	v_mul_lo_u32 v6, v30, s17
	s_mov_b32 s2, 0
	s_wait_loadcnt 0x0
	s_delay_alu instid0(VALU_DEP_1) | instskip(NEXT) | instid1(VALU_DEP_1)
	v_subrev_nc_u32_e32 v8, s19, v6
	v_mov_b32_e32 v32, v8
.LBB4_10:                               ;   Parent Loop BB4_6 Depth=1
                                        ;     Parent Loop BB4_9 Depth=2
                                        ; =>    This Inner Loop Header: Depth=3
	s_delay_alu instid0(VALU_DEP_1) | instskip(NEXT) | instid1(VALU_DEP_1)
	v_mov_b32_e32 v31, v32
	v_cmp_lt_i32_e32 vcc_lo, -1, v31
	v_add_nc_u32_e32 v32, s21, v31
	s_wait_alu 0xfffe
	s_or_b32 s2, vcc_lo, s2
	s_wait_alu 0xfffe
	s_and_not1_b32 exec_lo, exec_lo, s2
	s_cbranch_execnz .LBB4_10
; %bb.11:                               ;   in Loop: Header=BB4_9 Depth=2
	s_or_b32 exec_lo, exec_lo, s2
	v_lshrrev_b32_e32 v6, 31, v5
	v_max_i32_e32 v9, 0, v5
	s_mov_b32 s2, -1
	s_delay_alu instid0(VALU_DEP_2) | instskip(NEXT) | instid1(VALU_DEP_1)
	v_add_nc_u32_e32 v10, v5, v6
	v_sub_nc_u32_e32 v9, v9, v10
	s_delay_alu instid0(VALU_DEP_1) | instskip(NEXT) | instid1(VALU_DEP_1)
	v_mul_hi_u32 v10, v9, s27
	v_mul_lo_u32 v11, v10, s26
	s_delay_alu instid0(VALU_DEP_1) | instskip(SKIP_1) | instid1(VALU_DEP_2)
	v_sub_nc_u32_e32 v9, v9, v11
	v_add_nc_u32_e32 v11, 1, v10
	v_subrev_nc_u32_e32 v12, s26, v9
	v_cmp_le_u32_e32 vcc_lo, s26, v9
	s_wait_alu 0xfffd
	s_delay_alu instid0(VALU_DEP_2) | instskip(NEXT) | instid1(VALU_DEP_1)
	v_dual_cndmask_b32 v10, v10, v11 :: v_dual_cndmask_b32 v9, v9, v12
	v_add_nc_u32_e32 v11, 1, v10
	s_delay_alu instid0(VALU_DEP_2) | instskip(SKIP_1) | instid1(VALU_DEP_2)
	v_cmp_le_u32_e32 vcc_lo, s26, v9
	s_wait_alu 0xfffd
	v_cndmask_b32_e32 v9, v10, v11, vcc_lo
	s_and_b32 vcc_lo, exec_lo, s33
	s_delay_alu instid0(VALU_DEP_1) | instskip(NEXT) | instid1(VALU_DEP_1)
	v_add_nc_u32_e32 v6, v6, v9
	v_mad_co_u64_u32 v[5:6], null, s20, v6, v[5:6]
	v_add_nc_u32_e32 v6, s28, v8
	s_delay_alu instid0(VALU_DEP_1) | instskip(NEXT) | instid1(VALU_DEP_3)
	v_min_i32_e32 v6, s11, v6
	v_cmp_lt_i32_e64 s4, v5, v29
	s_wait_alu 0xfffe
	s_cbranch_vccnz .LBB4_14
; %bb.12:                               ;   in Loop: Header=BB4_9 Depth=2
	s_and_b32 vcc_lo, exec_lo, s2
	s_wait_alu 0xfffe
	s_cbranch_vccnz .LBB4_60
.LBB4_13:                               ;   in Loop: Header=BB4_9 Depth=2
	s_and_saveexec_b32 s3, s1
	s_cbranch_execz .LBB4_8
	s_branch .LBB4_72
.LBB4_14:                               ;   in Loop: Header=BB4_9 Depth=2
	v_mul_lo_u32 v9, v5, s24
	v_mul_lo_u32 v8, v31, s25
	v_cmp_lt_i32_e32 vcc_lo, v31, v6
	v_mov_b32_e32 v34, 0
	v_mov_b32_e32 v36, 0
	v_ashrrev_i32_e32 v10, 31, v9
	s_delay_alu instid0(VALU_DEP_1) | instskip(SKIP_1) | instid1(VALU_DEP_2)
	v_lshlrev_b64_e32 v[10:11], 2, v[9:10]
	v_ashrrev_i32_e32 v9, 31, v8
	v_add_co_u32 v37, s2, v16, v10
	s_wait_alu 0xf1ff
	s_delay_alu instid0(VALU_DEP_3) | instskip(SKIP_3) | instid1(SALU_CYCLE_1)
	v_add_co_ci_u32_e64 v39, null, v17, v11, s2
	s_and_b32 s2, s4, vcc_lo
	s_wait_alu 0xfffe
	s_and_b32 s40, s1, s2
	s_and_saveexec_b32 s3, s40
	s_cbranch_execz .LBB4_16
; %bb.15:                               ;   in Loop: Header=BB4_9 Depth=2
	v_lshlrev_b64_e32 v[10:11], 2, v[8:9]
	s_delay_alu instid0(VALU_DEP_1) | instskip(SKIP_1) | instid1(VALU_DEP_2)
	v_add_co_u32 v10, s2, v37, v10
	s_wait_alu 0xf1ff
	v_add_co_ci_u32_e64 v11, null, v39, v11, s2
	global_load_b32 v36, v[10:11], off
.LBB4_16:                               ;   in Loop: Header=BB4_9 Depth=2
	s_wait_alu 0xfffe
	s_or_b32 exec_lo, exec_lo, s3
	v_mul_lo_u32 v10, v32, s25
	v_cmp_lt_i32_e64 s2, v32, v6
	s_and_b32 s3, s4, s2
	s_wait_alu 0xfffe
	s_and_b32 s41, s1, s3
	v_ashrrev_i32_e32 v11, 31, v10
	s_and_saveexec_b32 s5, s41
	s_cbranch_execz .LBB4_18
; %bb.17:                               ;   in Loop: Header=BB4_9 Depth=2
	s_delay_alu instid0(VALU_DEP_1) | instskip(NEXT) | instid1(VALU_DEP_1)
	v_lshlrev_b64_e32 v[12:13], 2, v[10:11]
	v_add_co_u32 v12, s3, v37, v12
	s_wait_alu 0xf1ff
	s_delay_alu instid0(VALU_DEP_2)
	v_add_co_ci_u32_e64 v13, null, v39, v13, s3
	global_load_b32 v34, v[12:13], off
.LBB4_18:                               ;   in Loop: Header=BB4_9 Depth=2
	s_wait_alu 0xfffe
	s_or_b32 exec_lo, exec_lo, s5
	v_dual_mov_b32 v38, 0 :: v_dual_add_nc_u32 v33, s34, v31
	v_mov_b32_e32 v35, 0
	s_delay_alu instid0(VALU_DEP_2)
	v_mul_lo_u32 v12, v33, s25
	v_cmp_lt_i32_e64 s3, v33, v6
	s_and_b32 s4, s4, s3
	s_wait_alu 0xfffe
	s_and_b32 s42, s1, s4
	v_ashrrev_i32_e32 v13, 31, v12
	s_wait_alu 0xfffe
	s_and_saveexec_b32 s5, s42
	s_cbranch_execz .LBB4_20
; %bb.19:                               ;   in Loop: Header=BB4_9 Depth=2
	s_delay_alu instid0(VALU_DEP_1) | instskip(NEXT) | instid1(VALU_DEP_1)
	v_lshlrev_b64_e32 v[40:41], 2, v[12:13]
	v_add_co_u32 v37, s4, v37, v40
	s_wait_alu 0xf1ff
	s_delay_alu instid0(VALU_DEP_2)
	v_add_co_ci_u32_e64 v38, null, v39, v41, s4
	global_load_b32 v38, v[37:38], off
.LBB4_20:                               ;   in Loop: Header=BB4_9 Depth=2
	s_wait_alu 0xfffe
	s_or_b32 exec_lo, exec_lo, s5
	v_add_nc_u32_e32 v40, s20, v5
	s_delay_alu instid0(VALU_DEP_1) | instskip(SKIP_1) | instid1(VALU_DEP_2)
	v_mul_lo_u32 v41, v40, s24
	v_cmp_lt_i32_e64 s4, v40, v29
	v_ashrrev_i32_e32 v42, 31, v41
	s_delay_alu instid0(VALU_DEP_1) | instskip(NEXT) | instid1(VALU_DEP_1)
	v_lshlrev_b64_e32 v[41:42], 2, v[41:42]
	v_add_co_u32 v39, s5, v16, v41
	s_wait_alu 0xf1ff
	s_delay_alu instid0(VALU_DEP_2)
	v_add_co_ci_u32_e64 v42, null, v17, v42, s5
	s_and_b32 s5, s4, vcc_lo
	s_wait_alu 0xfffe
	s_and_b32 s43, s1, s5
	s_wait_alu 0xfffe
	s_and_saveexec_b32 s44, s43
	s_cbranch_execz .LBB4_22
; %bb.21:                               ;   in Loop: Header=BB4_9 Depth=2
	v_lshlrev_b64_e32 v[43:44], 2, v[8:9]
	s_delay_alu instid0(VALU_DEP_1) | instskip(SKIP_1) | instid1(VALU_DEP_2)
	v_add_co_u32 v43, s5, v39, v43
	s_wait_alu 0xf1ff
	v_add_co_ci_u32_e64 v44, null, v42, v44, s5
	global_load_b32 v35, v[43:44], off
.LBB4_22:                               ;   in Loop: Header=BB4_9 Depth=2
	s_or_b32 exec_lo, exec_lo, s44
	v_mov_b32_e32 v37, 0
	v_mov_b32_e32 v41, 0
	s_and_b32 s5, s4, s2
	s_wait_alu 0xfffe
	s_and_b32 s45, s1, s5
	s_delay_alu instid0(SALU_CYCLE_1)
	s_and_saveexec_b32 s44, s45
	s_cbranch_execz .LBB4_24
; %bb.23:                               ;   in Loop: Header=BB4_9 Depth=2
	v_lshlrev_b64_e32 v[43:44], 2, v[10:11]
	s_delay_alu instid0(VALU_DEP_1) | instskip(SKIP_1) | instid1(VALU_DEP_2)
	v_add_co_u32 v43, s5, v39, v43
	s_wait_alu 0xf1ff
	v_add_co_ci_u32_e64 v44, null, v42, v44, s5
	global_load_b32 v41, v[43:44], off
.LBB4_24:                               ;   in Loop: Header=BB4_9 Depth=2
	s_or_b32 exec_lo, exec_lo, s44
	s_and_b32 s4, s4, s3
	s_wait_alu 0xfffe
	s_and_b32 s44, s1, s4
	s_delay_alu instid0(SALU_CYCLE_1)
	s_and_saveexec_b32 s5, s44
	s_cbranch_execz .LBB4_26
; %bb.25:                               ;   in Loop: Header=BB4_9 Depth=2
	v_lshlrev_b64_e32 v[43:44], 2, v[12:13]
	s_delay_alu instid0(VALU_DEP_1) | instskip(SKIP_1) | instid1(VALU_DEP_2)
	v_add_co_u32 v43, s4, v39, v43
	s_wait_alu 0xf1ff
	v_add_co_ci_u32_e64 v44, null, v42, v44, s4
	global_load_b32 v37, v[43:44], off
.LBB4_26:                               ;   in Loop: Header=BB4_9 Depth=2
	s_wait_alu 0xfffe
	s_or_b32 exec_lo, exec_lo, s5
	v_dual_mov_b32 v39, 0 :: v_dual_add_nc_u32 v42, s20, v40
	s_delay_alu instid0(VALU_DEP_1) | instskip(SKIP_1) | instid1(VALU_DEP_2)
	v_mul_lo_u32 v43, v42, s24
	v_cmp_lt_i32_e64 s4, v42, v29
	v_ashrrev_i32_e32 v44, 31, v43
	s_delay_alu instid0(VALU_DEP_1) | instskip(SKIP_1) | instid1(VALU_DEP_2)
	v_lshlrev_b64_e32 v[44:45], 2, v[43:44]
	v_mov_b32_e32 v43, 0
	v_add_co_u32 v44, s5, v16, v44
	s_wait_alu 0xf1ff
	s_delay_alu instid0(VALU_DEP_3) | instskip(SKIP_3) | instid1(SALU_CYCLE_1)
	v_add_co_ci_u32_e64 v45, null, v17, v45, s5
	s_and_b32 s5, s4, vcc_lo
	s_wait_alu 0xfffe
	s_and_b32 s46, s1, s5
	s_and_saveexec_b32 s5, s46
	s_cbranch_execz .LBB4_28
; %bb.27:                               ;   in Loop: Header=BB4_9 Depth=2
	v_lshlrev_b64_e32 v[8:9], 2, v[8:9]
	s_delay_alu instid0(VALU_DEP_1) | instskip(SKIP_1) | instid1(VALU_DEP_2)
	v_add_co_u32 v8, vcc_lo, v44, v8
	s_wait_alu 0xfffd
	v_add_co_ci_u32_e64 v9, null, v45, v9, vcc_lo
	global_load_b32 v43, v[8:9], off
.LBB4_28:                               ;   in Loop: Header=BB4_9 Depth=2
	s_wait_alu 0xfffe
	s_or_b32 exec_lo, exec_lo, s5
	s_and_b32 s2, s4, s2
	s_wait_alu 0xfffe
	s_and_b32 s5, s1, s2
	s_wait_alu 0xfffe
	s_and_saveexec_b32 s2, s5
	s_cbranch_execz .LBB4_30
; %bb.29:                               ;   in Loop: Header=BB4_9 Depth=2
	v_lshlrev_b64_e32 v[8:9], 2, v[10:11]
	s_delay_alu instid0(VALU_DEP_1) | instskip(SKIP_1) | instid1(VALU_DEP_2)
	v_add_co_u32 v8, vcc_lo, v44, v8
	s_wait_alu 0xfffd
	v_add_co_ci_u32_e64 v9, null, v45, v9, vcc_lo
	global_load_b32 v39, v[8:9], off
.LBB4_30:                               ;   in Loop: Header=BB4_9 Depth=2
	s_wait_alu 0xfffe
	s_or_b32 exec_lo, exec_lo, s2
	v_mov_b32_e32 v8, 0
	s_and_b32 s2, s4, s3
	s_wait_alu 0xfffe
	s_and_b32 s3, s1, s2
	s_wait_alu 0xfffe
	s_and_saveexec_b32 s2, s3
	s_cbranch_execz .LBB4_32
; %bb.31:                               ;   in Loop: Header=BB4_9 Depth=2
	v_lshlrev_b64_e32 v[8:9], 2, v[12:13]
	s_delay_alu instid0(VALU_DEP_1) | instskip(SKIP_1) | instid1(VALU_DEP_2)
	v_add_co_u32 v8, vcc_lo, v44, v8
	s_wait_alu 0xfffd
	v_add_co_ci_u32_e64 v9, null, v45, v9, vcc_lo
	global_load_b32 v8, v[8:9], off
.LBB4_32:                               ;   in Loop: Header=BB4_9 Depth=2
	s_wait_alu 0xfffe
	s_or_b32 exec_lo, exec_lo, s2
	v_mul_lo_u32 v9, v5, s11
	s_and_saveexec_b32 s4, s40
	s_cbranch_execz .LBB4_35
; %bb.33:                               ;   in Loop: Header=BB4_9 Depth=2
	ds_load_b32 v10, v19
	s_wait_loadcnt 0x0
	v_cmp_u_f32_e64 s2, v36, v36
	s_wait_dscnt 0x0
	v_cmp_gt_f32_e32 vcc_lo, v36, v10
	s_or_b32 s2, s2, vcc_lo
	s_wait_alu 0xfffe
	s_and_b32 exec_lo, exec_lo, s2
	s_cbranch_execz .LBB4_35
; %bb.34:                               ;   in Loop: Header=BB4_9 Depth=2
	v_add_nc_u32_e32 v10, v31, v9
	ds_store_b32 v19, v36
	ds_store_b32 v20, v10
.LBB4_35:                               ;   in Loop: Header=BB4_9 Depth=2
	s_wait_alu 0xfffe
	s_or_b32 exec_lo, exec_lo, s4
	s_and_saveexec_b32 s4, s41
	s_cbranch_execz .LBB4_38
; %bb.36:                               ;   in Loop: Header=BB4_9 Depth=2
	ds_load_b32 v10, v19
	s_wait_loadcnt 0x0
	v_cmp_u_f32_e64 s2, v34, v34
	s_wait_dscnt 0x0
	v_cmp_gt_f32_e32 vcc_lo, v34, v10
	s_or_b32 s2, s2, vcc_lo
	s_wait_alu 0xfffe
	s_and_b32 exec_lo, exec_lo, s2
	s_cbranch_execz .LBB4_38
; %bb.37:                               ;   in Loop: Header=BB4_9 Depth=2
	v_add_nc_u32_e32 v10, v32, v9
	ds_store_b32 v19, v34
	ds_store_b32 v20, v10
.LBB4_38:                               ;   in Loop: Header=BB4_9 Depth=2
	s_wait_alu 0xfffe
	s_or_b32 exec_lo, exec_lo, s4
	s_and_saveexec_b32 s4, s42
	s_cbranch_execz .LBB4_41
; %bb.39:                               ;   in Loop: Header=BB4_9 Depth=2
	ds_load_b32 v10, v19
	s_wait_loadcnt 0x0
	v_cmp_u_f32_e64 s2, v38, v38
	s_wait_dscnt 0x0
	v_cmp_gt_f32_e32 vcc_lo, v38, v10
	s_or_b32 s2, s2, vcc_lo
	s_wait_alu 0xfffe
	s_and_b32 exec_lo, exec_lo, s2
	s_cbranch_execz .LBB4_41
; %bb.40:                               ;   in Loop: Header=BB4_9 Depth=2
	v_add_nc_u32_e32 v9, v33, v9
	ds_store_b32 v19, v38
	ds_store_b32 v20, v9
.LBB4_41:                               ;   in Loop: Header=BB4_9 Depth=2
	s_wait_alu 0xfffe
	s_or_b32 exec_lo, exec_lo, s4
	v_mul_lo_u32 v9, v40, s11
	s_and_saveexec_b32 s4, s43
	s_cbranch_execz .LBB4_44
; %bb.42:                               ;   in Loop: Header=BB4_9 Depth=2
	ds_load_b32 v10, v19
	s_wait_loadcnt 0x0
	v_cmp_u_f32_e64 s2, v35, v35
	s_wait_dscnt 0x0
	v_cmp_gt_f32_e32 vcc_lo, v35, v10
	s_or_b32 s2, s2, vcc_lo
	s_wait_alu 0xfffe
	s_and_b32 exec_lo, exec_lo, s2
	s_cbranch_execz .LBB4_44
; %bb.43:                               ;   in Loop: Header=BB4_9 Depth=2
	v_add_nc_u32_e32 v10, v31, v9
	ds_store_b32 v19, v35
	ds_store_b32 v20, v10
.LBB4_44:                               ;   in Loop: Header=BB4_9 Depth=2
	s_wait_alu 0xfffe
	s_or_b32 exec_lo, exec_lo, s4
	s_and_saveexec_b32 s4, s45
	s_cbranch_execz .LBB4_47
; %bb.45:                               ;   in Loop: Header=BB4_9 Depth=2
	ds_load_b32 v10, v19
	s_wait_loadcnt 0x0
	v_cmp_u_f32_e64 s2, v41, v41
	s_wait_dscnt 0x0
	v_cmp_gt_f32_e32 vcc_lo, v41, v10
	s_or_b32 s2, s2, vcc_lo
	s_wait_alu 0xfffe
	s_and_b32 exec_lo, exec_lo, s2
	s_cbranch_execz .LBB4_47
; %bb.46:                               ;   in Loop: Header=BB4_9 Depth=2
	v_add_nc_u32_e32 v10, v32, v9
	ds_store_b32 v19, v41
	ds_store_b32 v20, v10
.LBB4_47:                               ;   in Loop: Header=BB4_9 Depth=2
	s_wait_alu 0xfffe
	s_or_b32 exec_lo, exec_lo, s4
	s_and_saveexec_b32 s4, s44
	s_cbranch_execz .LBB4_50
; %bb.48:                               ;   in Loop: Header=BB4_9 Depth=2
	ds_load_b32 v10, v19
	s_wait_loadcnt 0x0
	v_cmp_u_f32_e64 s2, v37, v37
	s_wait_dscnt 0x0
	v_cmp_gt_f32_e32 vcc_lo, v37, v10
	s_or_b32 s2, s2, vcc_lo
	s_wait_alu 0xfffe
	s_and_b32 exec_lo, exec_lo, s2
	s_cbranch_execz .LBB4_50
; %bb.49:                               ;   in Loop: Header=BB4_9 Depth=2
	v_add_nc_u32_e32 v9, v33, v9
	ds_store_b32 v19, v37
	ds_store_b32 v20, v9
.LBB4_50:                               ;   in Loop: Header=BB4_9 Depth=2
	;; [unrolled: 58-line block ×3, first 2 shown]
	s_wait_alu 0xfffe
	s_or_b32 exec_lo, exec_lo, s4
	s_branch .LBB4_13
.LBB4_60:                               ;   in Loop: Header=BB4_9 Depth=2
	s_mov_b32 s4, exec_lo
	v_cmpx_lt_i32_e64 v5, v29
	s_cbranch_execz .LBB4_71
; %bb.61:                               ;   in Loop: Header=BB4_9 Depth=2
	v_mov_b32_e32 v10, v5
	s_mov_b32 s5, 0
	v_cmp_lt_i32_e32 vcc_lo, v31, v6
	s_branch .LBB4_63
.LBB4_62:                               ;   in Loop: Header=BB4_63 Depth=3
	s_or_b32 exec_lo, exec_lo, s40
	v_add_nc_u32_e32 v10, s20, v10
	s_delay_alu instid0(VALU_DEP_1)
	v_cmp_ge_i32_e64 s2, v10, v29
	s_wait_alu 0xfffe
	s_or_b32 s5, s2, s5
	s_wait_alu 0xfffe
	s_and_not1_b32 exec_lo, exec_lo, s5
	s_cbranch_execz .LBB4_71
.LBB4_63:                               ;   Parent Loop BB4_6 Depth=1
                                        ;     Parent Loop BB4_9 Depth=2
                                        ; =>    This Loop Header: Depth=3
                                        ;         Child Loop BB4_66 Depth 4
                                        ;           Child Loop BB4_69 Depth 5
	s_and_saveexec_b32 s40, vcc_lo
	s_cbranch_execz .LBB4_62
; %bb.64:                               ;   in Loop: Header=BB4_63 Depth=3
	s_wait_loadcnt 0x0
	v_mul_lo_u32 v8, v10, s24
	v_mul_lo_u32 v11, v10, s11
	v_mov_b32_e32 v32, v31
	s_mov_b32 s41, 0
	s_delay_alu instid0(VALU_DEP_3) | instskip(NEXT) | instid1(VALU_DEP_1)
	v_ashrrev_i32_e32 v9, 31, v8
	v_lshlrev_b64_e32 v[8:9], 2, v[8:9]
	s_delay_alu instid0(VALU_DEP_1) | instskip(SKIP_1) | instid1(VALU_DEP_2)
	v_add_co_u32 v12, s2, s14, v8
	s_wait_alu 0xf1ff
	v_add_co_ci_u32_e64 v13, null, s15, v9, s2
	s_branch .LBB4_66
.LBB4_65:                               ;   in Loop: Header=BB4_66 Depth=4
	s_wait_alu 0xfffe
	s_or_b32 exec_lo, exec_lo, s42
	v_add_nc_u32_e32 v32, s21, v32
	s_delay_alu instid0(VALU_DEP_1) | instskip(SKIP_1) | instid1(SALU_CYCLE_1)
	v_cmp_ge_i32_e64 s2, v32, v6
	s_or_b32 s41, s2, s41
	s_and_not1_b32 exec_lo, exec_lo, s41
	s_cbranch_execz .LBB4_62
.LBB4_66:                               ;   Parent Loop BB4_6 Depth=1
                                        ;     Parent Loop BB4_9 Depth=2
                                        ;       Parent Loop BB4_63 Depth=3
                                        ; =>      This Loop Header: Depth=4
                                        ;           Child Loop BB4_69 Depth 5
	s_and_saveexec_b32 s42, s1
	s_cbranch_execz .LBB4_65
; %bb.67:                               ;   in Loop: Header=BB4_66 Depth=4
	v_mul_lo_u32 v8, v32, s25
	v_dual_mov_b32 v34, v18 :: v_dual_add_nc_u32 v33, v32, v11
	s_mov_b32 s43, 0
	v_mov_b32_e32 v37, v1
	s_delay_alu instid0(VALU_DEP_3) | instskip(NEXT) | instid1(VALU_DEP_1)
	v_ashrrev_i32_e32 v9, 31, v8
	v_lshlrev_b64_e32 v[35:36], 2, v[8:9]
	v_mov_b32_e32 v8, v4
	s_delay_alu instid0(VALU_DEP_2) | instskip(SKIP_1) | instid1(VALU_DEP_3)
	v_add_co_u32 v35, s2, v12, v35
	s_wait_alu 0xf1ff
	v_add_co_ci_u32_e64 v36, null, v13, v36, s2
	s_branch .LBB4_69
.LBB4_68:                               ;   in Loop: Header=BB4_69 Depth=5
	s_wait_alu 0xfffe
	s_or_b32 exec_lo, exec_lo, s2
	v_add_nc_u32_e32 v37, s12, v37
	v_add_nc_u32_e32 v8, s35, v8
	;; [unrolled: 1-line block ×3, first 2 shown]
	s_delay_alu instid0(VALU_DEP_3)
	v_cmp_le_i32_e64 s2, s9, v37
	s_or_b32 s43, s2, s43
	s_wait_alu 0xfffe
	s_and_not1_b32 exec_lo, exec_lo, s43
	s_cbranch_execz .LBB4_65
.LBB4_69:                               ;   Parent Loop BB4_6 Depth=1
                                        ;     Parent Loop BB4_9 Depth=2
                                        ;       Parent Loop BB4_63 Depth=3
                                        ;         Parent Loop BB4_66 Depth=4
                                        ; =>        This Inner Loop Header: Depth=5
	v_ashrrev_i32_e32 v9, 31, v8
	s_delay_alu instid0(VALU_DEP_1) | instskip(NEXT) | instid1(VALU_DEP_1)
	v_lshlrev_b64_e32 v[38:39], 2, v[8:9]
	v_add_co_u32 v38, s2, v35, v38
	s_wait_alu 0xf1ff
	s_delay_alu instid0(VALU_DEP_2)
	v_add_co_ci_u32_e64 v39, null, v36, v39, s2
	global_load_b32 v9, v[38:39], off
	v_add_nc_u32_e32 v38, v34, v21
	ds_load_b32 v39, v38
	s_wait_loadcnt_dscnt 0x0
	v_cmp_gt_f32_e64 s2, v9, v39
	v_cmp_u_f32_e64 s3, v9, v9
	s_or_b32 s3, s3, s2
	s_wait_alu 0xfffe
	s_and_saveexec_b32 s2, s3
	s_cbranch_execz .LBB4_68
; %bb.70:                               ;   in Loop: Header=BB4_69 Depth=5
	v_add_nc_u32_e32 v39, v34, v22
	ds_store_b32 v38, v9
	ds_store_b32 v39, v33
	s_branch .LBB4_68
.LBB4_71:                               ;   in Loop: Header=BB4_9 Depth=2
	s_wait_alu 0xfffe
	s_or_b32 exec_lo, exec_lo, s4
	s_and_saveexec_b32 s3, s1
	s_cbranch_execz .LBB4_8
.LBB4_72:                               ;   in Loop: Header=BB4_9 Depth=2
	s_wait_loadcnt 0x0
	v_ashrrev_i32_e32 v8, 31, v7
	v_mov_b32_e32 v6, v18
	s_mov_b32 s4, 0
	s_delay_alu instid0(VALU_DEP_2) | instskip(SKIP_1) | instid1(VALU_DEP_2)
	v_lshlrev_b64_e32 v[9:10], 2, v[7:8]
	v_lshlrev_b64_e32 v[11:12], 3, v[7:8]
	v_add_co_u32 v8, vcc_lo, v23, v9
	s_wait_alu 0xfffd
	s_delay_alu instid0(VALU_DEP_3) | instskip(NEXT) | instid1(VALU_DEP_3)
	v_add_co_ci_u32_e64 v9, null, v24, v10, vcc_lo
	v_add_co_u32 v10, vcc_lo, v2, v11
	s_wait_alu 0xfffd
	v_add_co_ci_u32_e64 v11, null, v26, v12, vcc_lo
	v_mov_b32_e32 v12, v1
.LBB4_73:                               ;   Parent Loop BB4_6 Depth=1
                                        ;     Parent Loop BB4_9 Depth=2
                                        ; =>    This Inner Loop Header: Depth=3
	v_add_nc_u32_e32 v13, v6, v21
	v_add_nc_u32_e32 v33, v6, v22
	s_delay_alu instid0(VALU_DEP_3)
	v_add_nc_u32_e32 v12, s12, v12
	v_add_nc_u32_e32 v6, s36, v6
	ds_load_b32 v32, v13
	ds_load_b32 v31, v33
	v_cmp_le_i32_e32 vcc_lo, s9, v12
	s_wait_alu 0xfffe
	s_or_b32 s4, vcc_lo, s4
	s_wait_dscnt 0x1
	global_store_b32 v[8:9], v32, off
	s_wait_dscnt 0x0
	v_ashrrev_i32_e32 v32, 31, v31
	v_add_co_u32 v8, s2, v8, s6
	s_wait_alu 0xf1ff
	v_add_co_ci_u32_e64 v9, null, s7, v9, s2
	global_store_b64 v[10:11], v[31:32], off
	v_add_co_u32 v10, s2, v10, s22
	s_wait_alu 0xf1ff
	v_add_co_ci_u32_e64 v11, null, s23, v11, s2
	ds_store_b32 v13, v27
	ds_store_b32 v33, v28
	s_wait_alu 0xfffe
	s_and_not1_b32 exec_lo, exec_lo, s4
	s_cbranch_execnz .LBB4_73
	s_branch .LBB4_8
.LBB4_74:
	s_endpgm
	.section	.rodata,"a",@progbits
	.p2align	6, 0x0
	.amdhsa_kernel _ZN2at6native12_GLOBAL__N_121max_pool_forward_nhwcIfiEEvPKT_iT0_S6_S6_S6_S6_iiiiiiiiS6_S6_S6_S6_iiPS3_Pl
		.amdhsa_group_segment_fixed_size 0
		.amdhsa_private_segment_fixed_size 0
		.amdhsa_kernarg_size 360
		.amdhsa_user_sgpr_count 2
		.amdhsa_user_sgpr_dispatch_ptr 0
		.amdhsa_user_sgpr_queue_ptr 0
		.amdhsa_user_sgpr_kernarg_segment_ptr 1
		.amdhsa_user_sgpr_dispatch_id 0
		.amdhsa_user_sgpr_private_segment_size 0
		.amdhsa_wavefront_size32 1
		.amdhsa_uses_dynamic_stack 0
		.amdhsa_enable_private_segment 0
		.amdhsa_system_sgpr_workgroup_id_x 1
		.amdhsa_system_sgpr_workgroup_id_y 1
		.amdhsa_system_sgpr_workgroup_id_z 1
		.amdhsa_system_sgpr_workgroup_info 0
		.amdhsa_system_vgpr_workitem_id 2
		.amdhsa_next_free_vgpr 46
		.amdhsa_next_free_sgpr 47
		.amdhsa_reserve_vcc 1
		.amdhsa_float_round_mode_32 0
		.amdhsa_float_round_mode_16_64 0
		.amdhsa_float_denorm_mode_32 3
		.amdhsa_float_denorm_mode_16_64 3
		.amdhsa_fp16_overflow 0
		.amdhsa_workgroup_processor_mode 1
		.amdhsa_memory_ordered 1
		.amdhsa_forward_progress 1
		.amdhsa_inst_pref_size 31
		.amdhsa_round_robin_scheduling 0
		.amdhsa_exception_fp_ieee_invalid_op 0
		.amdhsa_exception_fp_denorm_src 0
		.amdhsa_exception_fp_ieee_div_zero 0
		.amdhsa_exception_fp_ieee_overflow 0
		.amdhsa_exception_fp_ieee_underflow 0
		.amdhsa_exception_fp_ieee_inexact 0
		.amdhsa_exception_int_div_zero 0
	.end_amdhsa_kernel
	.section	.text._ZN2at6native12_GLOBAL__N_121max_pool_forward_nhwcIfiEEvPKT_iT0_S6_S6_S6_S6_iiiiiiiiS6_S6_S6_S6_iiPS3_Pl,"axG",@progbits,_ZN2at6native12_GLOBAL__N_121max_pool_forward_nhwcIfiEEvPKT_iT0_S6_S6_S6_S6_iiiiiiiiS6_S6_S6_S6_iiPS3_Pl,comdat
.Lfunc_end4:
	.size	_ZN2at6native12_GLOBAL__N_121max_pool_forward_nhwcIfiEEvPKT_iT0_S6_S6_S6_S6_iiiiiiiiS6_S6_S6_S6_iiPS3_Pl, .Lfunc_end4-_ZN2at6native12_GLOBAL__N_121max_pool_forward_nhwcIfiEEvPKT_iT0_S6_S6_S6_S6_iiiiiiiiS6_S6_S6_S6_iiPS3_Pl
                                        ; -- End function
	.set _ZN2at6native12_GLOBAL__N_121max_pool_forward_nhwcIfiEEvPKT_iT0_S6_S6_S6_S6_iiiiiiiiS6_S6_S6_S6_iiPS3_Pl.num_vgpr, 46
	.set _ZN2at6native12_GLOBAL__N_121max_pool_forward_nhwcIfiEEvPKT_iT0_S6_S6_S6_S6_iiiiiiiiS6_S6_S6_S6_iiPS3_Pl.num_agpr, 0
	.set _ZN2at6native12_GLOBAL__N_121max_pool_forward_nhwcIfiEEvPKT_iT0_S6_S6_S6_S6_iiiiiiiiS6_S6_S6_S6_iiPS3_Pl.numbered_sgpr, 47
	.set _ZN2at6native12_GLOBAL__N_121max_pool_forward_nhwcIfiEEvPKT_iT0_S6_S6_S6_S6_iiiiiiiiS6_S6_S6_S6_iiPS3_Pl.num_named_barrier, 0
	.set _ZN2at6native12_GLOBAL__N_121max_pool_forward_nhwcIfiEEvPKT_iT0_S6_S6_S6_S6_iiiiiiiiS6_S6_S6_S6_iiPS3_Pl.private_seg_size, 0
	.set _ZN2at6native12_GLOBAL__N_121max_pool_forward_nhwcIfiEEvPKT_iT0_S6_S6_S6_S6_iiiiiiiiS6_S6_S6_S6_iiPS3_Pl.uses_vcc, 1
	.set _ZN2at6native12_GLOBAL__N_121max_pool_forward_nhwcIfiEEvPKT_iT0_S6_S6_S6_S6_iiiiiiiiS6_S6_S6_S6_iiPS3_Pl.uses_flat_scratch, 0
	.set _ZN2at6native12_GLOBAL__N_121max_pool_forward_nhwcIfiEEvPKT_iT0_S6_S6_S6_S6_iiiiiiiiS6_S6_S6_S6_iiPS3_Pl.has_dyn_sized_stack, 0
	.set _ZN2at6native12_GLOBAL__N_121max_pool_forward_nhwcIfiEEvPKT_iT0_S6_S6_S6_S6_iiiiiiiiS6_S6_S6_S6_iiPS3_Pl.has_recursion, 0
	.set _ZN2at6native12_GLOBAL__N_121max_pool_forward_nhwcIfiEEvPKT_iT0_S6_S6_S6_S6_iiiiiiiiS6_S6_S6_S6_iiPS3_Pl.has_indirect_call, 0
	.section	.AMDGPU.csdata,"",@progbits
; Kernel info:
; codeLenInByte = 3896
; TotalNumSgprs: 49
; NumVgprs: 46
; ScratchSize: 0
; MemoryBound: 0
; FloatMode: 240
; IeeeMode: 1
; LDSByteSize: 0 bytes/workgroup (compile time only)
; SGPRBlocks: 0
; VGPRBlocks: 5
; NumSGPRsForWavesPerEU: 49
; NumVGPRsForWavesPerEU: 46
; Occupancy: 16
; WaveLimiterHint : 1
; COMPUTE_PGM_RSRC2:SCRATCH_EN: 0
; COMPUTE_PGM_RSRC2:USER_SGPR: 2
; COMPUTE_PGM_RSRC2:TRAP_HANDLER: 0
; COMPUTE_PGM_RSRC2:TGID_X_EN: 1
; COMPUTE_PGM_RSRC2:TGID_Y_EN: 1
; COMPUTE_PGM_RSRC2:TGID_Z_EN: 1
; COMPUTE_PGM_RSRC2:TIDIG_COMP_CNT: 2
	.section	.text._ZN2at6native12_GLOBAL__N_121max_pool_forward_nhwcIflEEvPKT_iT0_S6_S6_S6_S6_iiiiiiiiS6_S6_S6_S6_iiPS3_Pl,"axG",@progbits,_ZN2at6native12_GLOBAL__N_121max_pool_forward_nhwcIflEEvPKT_iT0_S6_S6_S6_S6_iiiiiiiiS6_S6_S6_S6_iiPS3_Pl,comdat
	.globl	_ZN2at6native12_GLOBAL__N_121max_pool_forward_nhwcIflEEvPKT_iT0_S6_S6_S6_S6_iiiiiiiiS6_S6_S6_S6_iiPS3_Pl ; -- Begin function _ZN2at6native12_GLOBAL__N_121max_pool_forward_nhwcIflEEvPKT_iT0_S6_S6_S6_S6_iiiiiiiiS6_S6_S6_S6_iiPS3_Pl
	.p2align	8
	.type	_ZN2at6native12_GLOBAL__N_121max_pool_forward_nhwcIflEEvPKT_iT0_S6_S6_S6_S6_iiiiiiiiS6_S6_S6_S6_iiPS3_Pl,@function
_ZN2at6native12_GLOBAL__N_121max_pool_forward_nhwcIflEEvPKT_iT0_S6_S6_S6_S6_iiiiiiiiS6_S6_S6_S6_iiPS3_Pl: ; @_ZN2at6native12_GLOBAL__N_121max_pool_forward_nhwcIflEEvPKT_iT0_S6_S6_S6_S6_iiiiiiiiS6_S6_S6_S6_iiPS3_Pl
; %bb.0:
	s_clause 0x1
	s_load_b128 s[4:7], s[0:1], 0x94
	s_load_b64 s[44:45], s[0:1], 0x78
	v_bfe_u32 v2, v0, 10, 10
	v_bfe_u32 v1, v0, 20, 10
	v_and_b32_e32 v6, 0x3ff, v0
	s_wait_kmcnt 0x0
	s_lshr_b32 s33, s6, 16
	s_and_b32 s46, s6, 0xffff
	v_mad_u32_u24 v7, v1, s33, v2
	s_mul_i32 s2, s45, s46
	s_and_b32 s52, s7, 0xffff
	s_mul_i32 s3, s2, s33
	s_mov_b32 s6, exec_lo
	v_mad_co_u64_u32 v[3:4], null, v7, s46, v[6:7]
	s_mul_i32 s3, s3, s52
	s_delay_alu instid0(SALU_CYCLE_1)
	v_cmpx_gt_u32_e64 s3, v3
	s_cbranch_execz .LBB5_3
; %bb.1:
	v_dual_mov_b32 v9, 0xff800000 :: v_dual_lshlrev_b32 v0, 2, v3
	v_mov_b32_e32 v4, 0
	s_lshl_b32 s8, s3, 3
	s_mul_i32 s7, s33, s46
	s_delay_alu instid0(VALU_DEP_2)
	v_add3_u32 v0, 0, s8, v0
	v_lshl_add_u32 v8, v3, 3, 0
	v_mov_b32_e32 v5, v4
	s_mul_i32 s7, s7, s52
	s_mov_b32 s8, 0
	s_lshl_b32 s9, s7, 2
	s_lshl_b32 s10, s7, 3
.LBB5_2:                                ; =>This Inner Loop Header: Depth=1
	v_add_nc_u32_e32 v3, s7, v3
	ds_store_b32 v0, v9
	ds_store_b64 v8, v[4:5]
	s_wait_alu 0xfffe
	v_add_nc_u32_e32 v0, s9, v0
	v_add_nc_u32_e32 v8, s10, v8
	v_cmp_le_u32_e32 vcc_lo, s3, v3
	s_or_b32 s8, vcc_lo, s8
	s_wait_alu 0xfffe
	s_and_not1_b32 exec_lo, exec_lo, s8
	s_cbranch_execnz .LBB5_2
.LBB5_3:
	s_or_b32 exec_lo, exec_lo, s6
	s_cvt_f32_u32 s6, s5
	s_load_b256 s[12:19], s[0:1], 0x10
	s_sub_co_i32 s7, 0, s5
	s_wait_dscnt 0x0
	v_rcp_iflag_f32_e32 v0, s6
	s_barrier_signal -1
	s_barrier_wait -1
	global_inv scope:SCOPE_SE
	v_readfirstlane_b32 s6, v0
	s_mul_f32 s6, s6, 0x4f7ffffe
	s_wait_kmcnt 0x0
	s_add_co_i32 s8, s18, s5
	s_wait_alu 0xfffe
	s_add_co_i32 s8, s8, -1
	s_cvt_u32_f32 s6, s6
	s_wait_alu 0xfffe
	s_delay_alu instid0(SALU_CYCLE_2)
	s_mul_i32 s7, s7, s6
	s_wait_alu 0xfffe
	s_mul_hi_u32 s7, s6, s7
	s_wait_alu 0xfffe
	s_add_co_i32 s7, s6, s7
	s_load_b32 s6, s[0:1], 0x8
	s_mul_hi_u32 s7, s8, s7
	s_wait_alu 0xfffe
	s_mul_i32 s9, s7, s5
	s_wait_alu 0xfffe
	s_sub_co_i32 s8, s8, s9
	s_add_co_i32 s9, s7, 1
	s_wait_alu 0xfffe
	s_sub_co_i32 s10, s8, s5
	s_cmp_ge_u32 s8, s5
	s_cselect_b32 s7, s9, s7
	s_wait_alu 0xfffe
	s_cselect_b32 s8, s10, s8
	s_add_co_i32 s9, s7, 1
	s_wait_alu 0xfffe
	s_cmp_ge_u32 s8, s5
	s_cvt_f32_u32 s8, s4
	s_cselect_b32 s5, s9, s7
	s_lshr_b32 s7, ttmp7, 16
	s_mov_b32 s9, 0
	s_wait_alu 0xfffe
	v_mad_co_u64_u32 v[0:1], null, s5, s7, v[1:2]
	s_wait_kmcnt 0x0
	s_cvt_f32_u32 s7, s6
	v_rcp_iflag_f32_e32 v3, s8
	s_mov_b32 s8, exec_lo
	s_wait_alu 0xfffe
	v_rcp_iflag_f32_e32 v1, s7
	s_delay_alu instid0(VALU_DEP_1) | instskip(NEXT) | instid1(TRANS32_DEP_2)
	v_add_nc_u32_e32 v4, s5, v0
	v_readfirstlane_b32 s5, v3
	s_delay_alu instid0(VALU_DEP_2) | instskip(NEXT) | instid1(TRANS32_DEP_1)
	v_min_i32_e32 v34, s18, v4
	v_readfirstlane_b32 s7, v1
	s_delay_alu instid0(VALU_DEP_2)
	v_cmpx_lt_i32_e64 v0, v34
	s_cbranch_execz .LBB5_78
; %bb.4:
	s_load_b64 s[10:11], s[0:1], 0x30
	s_mul_f32 s7, s7, 0x4f7ffffe
	s_mul_f32 s5, s5, 0x4f7ffffe
	s_sub_co_i32 s28, 0, s6
	s_sub_co_i32 s30, 0, s4
	s_wait_alu 0xfffe
	s_cvt_u32_f32 s7, s7
	s_cvt_u32_f32 s5, s5
	s_mov_b32 s8, ttmp9
	s_mov_b32 s29, s9
	s_wait_alu 0xfffe
	s_mul_i32 s28, s28, s7
	s_mul_i32 s30, s30, s5
	s_mul_hi_u32 s28, s7, s28
	s_load_b256 s[20:27], s[0:1], 0x58
	s_add_co_i32 s28, s7, s28
	s_mul_hi_u32 s7, s5, s30
	s_mul_u64 s[28:29], s[8:9], s[28:29]
	s_load_b64 s[30:31], s[0:1], 0x0
	s_add_co_i32 s28, s5, s7
	s_mul_i32 s7, s29, s6
	s_lshl_b32 s3, s3, 3
	s_wait_kmcnt 0x0
	s_add_co_i32 s5, s10, s4
	s_and_b32 s34, ttmp7, 0xffff
	s_wait_alu 0xfffe
	s_add_co_i32 s8, s5, -1
	s_sub_co_i32 s5, ttmp9, s7
	s_add_co_i32 s3, s3, 0
	s_add_co_i32 s7, s29, 1
	s_wait_alu 0xfffe
	s_sub_co_i32 s35, s5, s6
	s_cmp_ge_u32 s5, s6
	v_mul_lo_u32 v4, s2, v7
	s_cselect_b32 s7, s7, s29
	s_cselect_b32 s5, s35, s5
	s_wait_alu 0xfffe
	s_add_co_i32 s29, s7, 1
	s_cmp_ge_u32 s5, s6
	v_lshlrev_b32_e32 v12, 2, v7
	s_cselect_b32 s5, s29, s7
	s_mov_b32 s29, s9
	s_wait_alu 0xfffe
	s_mul_i32 s35, s5, s6
	s_mul_u64 s[6:7], s[8:9], s[28:29]
	s_sub_co_i32 s48, ttmp9, s35
	s_wait_alu 0xfffe
	s_mul_i32 s6, s7, s4
	s_ashr_i32 s49, s48, 31
	s_wait_alu 0xfffe
	s_sub_co_i32 s6, s8, s6
	s_mul_u64 s[20:21], s[20:21], s[48:49]
	s_add_co_i32 s8, s7, 1
	s_lshl_b64 s[20:21], s[20:21], 2
	s_wait_alu 0xfffe
	s_sub_co_i32 s28, s6, s4
	s_cmp_ge_u32 s6, s4
	v_lshlrev_b32_e32 v10, 2, v4
	s_cselect_b32 s7, s8, s7
	s_cselect_b32 s6, s28, s6
	s_wait_alu 0xfffe
	s_add_co_i32 s8, s7, 1
	s_cmp_ge_u32 s6, s4
	v_lshlrev_b32_e32 v11, 3, v4
	s_wait_alu 0xfffe
	s_cselect_b32 s2, s8, s7
	s_mul_i32 s8, s44, s46
	s_wait_alu 0xfffe
	v_mad_co_u64_u32 v[1:2], null, s2, s34, v[2:3]
	v_mad_co_u64_u32 v[2:3], null, s5, s46, v[6:7]
	s_load_b256 s[36:43], s[0:1], 0x38
	s_add_nc_u64 s[20:21], s[30:31], s[20:21]
	v_mul_lo_u32 v7, s45, v7
	s_load_b128 s[4:7], s[0:1], 0x80
	v_add_nc_u32_e32 v4, s2, v1
	v_cmp_le_i64_e64 s2, s[12:13], s[8:9]
	v_ashrrev_i32_e32 v3, 31, v2
	v_mul_lo_u32 v9, s23, v2
	s_mul_i32 s8, s33, s52
	v_min_i32_e32 v35, s10, v4
	v_mad_co_u64_u32 v[4:5], null, s22, v2, 0
	v_mul_lo_u32 v8, s22, v3
	v_mul_lo_u32 v7, v7, s46
	s_mov_b32 s47, s9
	s_mov_b32 s50, s44
	s_mul_u64 s[18:19], s[10:11], s[18:19]
	s_mov_b32 s62, 0
	s_wait_alu 0xfffe
	s_mul_u64 s[48:49], s[18:19], s[48:49]
	v_mov_b32_e32 v42, 0xff800000
	v_add3_u32 v5, v5, v8, v9
	v_lshlrev_b32_e32 v7, 3, v7
	s_wait_kmcnt 0x0
	s_add_co_i32 s0, s36, -1
	s_add_co_i32 s1, s37, -1
	s_mul_i32 s0, s42, s0
	v_lshlrev_b64_e32 v[8:9], 2, v[4:5]
	s_mul_i32 s1, s43, s1
	s_add_co_i32 s54, s0, 1
	s_add_co_i32 s57, s1, 1
	s_max_i32 s1, s36, s37
	s_ashr_i32 s55, s40, 31
	v_add_co_u32 v36, vcc_lo, s20, v8
	v_lshl_add_u32 v8, s8, 3, v12
	v_add_co_ci_u32_e64 v37, null, s21, v9, vcc_lo
	v_lshlrev_b32_e32 v9, 2, v6
	v_lshlrev_b32_e32 v6, 3, v6
	s_delay_alu instid0(VALU_DEP_4)
	v_mul_lo_u32 v8, s45, v8
	s_ashr_i32 s56, s54, 31
	s_ashr_i32 s29, s41, 31
	v_add3_u32 v38, s3, v10, v9
	v_add3_u32 v41, v7, v6, 0
	v_mov_b32_e32 v10, 0
	v_add3_u32 v39, 0, v11, v6
	v_lshlrev_b64_e32 v[6:7], 3, v[2:3]
	v_mul_lo_u32 v8, v8, s46
	s_ashr_i32 s58, s57, 31
	s_ashr_i32 s31, s42, 31
	;; [unrolled: 1-line block ×3, first 2 shown]
	s_mov_b32 s30, s42
	s_cmp_lt_i32 s1, 4
	v_cmp_gt_u64_e64 s8, s[30:31], 1
	v_add_co_u32 v6, vcc_lo, s6, v6
	v_add3_u32 v40, v8, v9, 0
	v_lshlrev_b64_e32 v[8:9], 2, v[2:3]
	s_cselect_b32 s1, -1, 0
	s_wait_alu 0xfffd
	v_add_co_ci_u32_e64 v7, null, s7, v7, vcc_lo
	s_mov_b32 s28, s41
	s_mov_b32 s34, s43
	v_add_co_u32 v8, vcc_lo, s4, v8
	s_and_b32 s59, s1, s2
	v_cmp_le_i64_e64 s1, s[12:13], v[2:3]
	v_cmp_gt_i64_e64 s2, s[12:13], v[2:3]
	s_ashr_i32 s51, s44, 31
	v_cmp_lt_i32_e64 s0, v1, v35
	s_wait_alu 0xfffd
	v_add_co_ci_u32_e64 v9, null, s5, v9, vcc_lo
	s_mul_u64 s[36:37], s[46:47], s[50:51]
	s_wait_alu 0xfffe
	s_add_nc_u64 s[44:45], s[28:29], s[34:35]
	s_mul_u64 s[50:51], s[22:23], s[50:51]
	s_and_b32 s8, s8, exec_lo
	s_mov_b32 s53, s40
	s_cselect_b32 s41, s31, 0
	s_cselect_b32 s40, s42, 1
	s_wait_alu 0xfffe
	s_sub_nc_u64 s[22:23], 0, s[44:45]
	s_mul_u64 s[44:45], s[50:51], s[46:47]
	s_lshl_b32 s60, s46, 2
	s_lshl_b32 s61, s46, 3
	s_lshl_b64 s[18:19], s[48:49], 3
	s_lshl_b64 s[46:47], s[36:37], 3
	;; [unrolled: 1-line block ×4, first 2 shown]
	s_branch .LBB5_6
.LBB5_5:                                ;   in Loop: Header=BB5_6 Depth=1
	s_or_b32 exec_lo, exec_lo, s63
	v_add_nc_u32_e32 v0, s52, v0
	s_delay_alu instid0(VALU_DEP_1) | instskip(SKIP_1) | instid1(SALU_CYCLE_1)
	v_cmp_ge_i32_e32 vcc_lo, v0, v34
	s_or_b32 s62, vcc_lo, s62
	s_and_not1_b32 exec_lo, exec_lo, s62
	s_cbranch_execz .LBB5_78
.LBB5_6:                                ; =>This Loop Header: Depth=1
                                        ;     Child Loop BB5_9 Depth 2
                                        ;       Child Loop BB5_14 Depth 3
                                        ;       Child Loop BB5_67 Depth 3
                                        ;         Child Loop BB5_70 Depth 4
                                        ;           Child Loop BB5_73 Depth 5
                                        ;       Child Loop BB5_77 Depth 3
	s_and_saveexec_b32 s63, s0
	s_cbranch_execz .LBB5_5
; %bb.7:                                ;   in Loop: Header=BB5_6 Depth=1
	v_mad_co_i64_i32 v[12:13], null, v0, s38, 0
	v_ashrrev_i32_e32 v11, 31, v0
	v_mul_lo_u32 v18, s11, v0
	v_mad_co_u64_u32 v[14:15], null, s10, v0, 0
	s_mov_b32 s64, 0
	v_mul_lo_u32 v11, s10, v11
	v_sub_co_u32 v12, vcc_lo, v12, s53
	s_wait_alu 0xfffd
	v_subrev_co_ci_u32_e64 v13, null, s55, v13, vcc_lo
	v_mov_b32_e32 v43, v1
	s_delay_alu instid0(VALU_DEP_3) | instskip(SKIP_1) | instid1(VALU_DEP_3)
	v_add_co_u32 v16, vcc_lo, v12, s54
	s_wait_alu 0xfffd
	v_add_co_ci_u32_e64 v17, null, s56, v13, vcc_lo
	v_add3_u32 v15, v15, v11, v18
	s_delay_alu instid0(VALU_DEP_2)
	v_cmp_gt_i64_e32 vcc_lo, s[14:15], v[16:17]
	s_wait_alu 0xfffd
	v_cndmask_b32_e32 v17, s15, v17, vcc_lo
	v_cndmask_b32_e32 v16, s14, v16, vcc_lo
	s_branch .LBB5_9
.LBB5_8:                                ;   in Loop: Header=BB5_9 Depth=2
	s_wait_alu 0xfffe
	s_or_b32 exec_lo, exec_lo, s4
	v_add_nc_u32_e32 v43, s33, v43
	s_delay_alu instid0(VALU_DEP_1) | instskip(SKIP_1) | instid1(SALU_CYCLE_1)
	v_cmp_ge_i32_e32 vcc_lo, v43, v35
	s_or_b32 s64, vcc_lo, s64
	s_and_not1_b32 exec_lo, exec_lo, s64
	s_cbranch_execz .LBB5_5
.LBB5_9:                                ;   Parent Loop BB5_6 Depth=1
                                        ; =>  This Loop Header: Depth=2
                                        ;       Child Loop BB5_14 Depth 3
                                        ;       Child Loop BB5_67 Depth 3
                                        ;         Child Loop BB5_70 Depth 4
                                        ;           Child Loop BB5_73 Depth 5
                                        ;       Child Loop BB5_77 Depth 3
	v_cmp_lt_i64_e32 vcc_lo, 0, v[12:13]
	v_lshrrev_b32_e32 v24, 31, v13
	s_mov_b32 s3, exec_lo
	s_wait_alu 0xfffd
	v_dual_cndmask_b32 v11, 0, v13 :: v_dual_cndmask_b32 v18, 0, v12
	s_delay_alu instid0(VALU_DEP_2) | instskip(SKIP_2) | instid1(VALU_DEP_2)
	v_add_co_u32 v19, vcc_lo, v12, v24
	s_wait_alu 0xfffd
	v_add_co_ci_u32_e64 v20, null, 0, v13, vcc_lo
	v_sub_co_u32 v18, vcc_lo, v18, v19
	s_wait_alu 0xfffd
	s_delay_alu instid0(VALU_DEP_2) | instskip(NEXT) | instid1(VALU_DEP_1)
	v_sub_co_ci_u32_e64 v19, null, v11, v20, vcc_lo
                                        ; implicit-def: $vgpr20_vgpr21
	v_or_b32_e32 v11, s41, v19
	s_delay_alu instid0(VALU_DEP_1)
	v_cmpx_ne_u64_e32 0, v[10:11]
	s_wait_alu 0xfffe
	s_xor_b32 s4, exec_lo, s3
	s_cbranch_execz .LBB5_11
; %bb.10:                               ;   in Loop: Header=BB5_9 Depth=2
	s_cvt_f32_u32 s3, s40
	s_cvt_f32_u32 s5, s41
	s_sub_nc_u64 s[66:67], 0, s[40:41]
	s_wait_alu 0xfffe
	s_delay_alu instid0(SALU_CYCLE_1) | instskip(SKIP_1) | instid1(SALU_CYCLE_2)
	s_fmamk_f32 s3, s5, 0x4f800000, s3
	s_wait_alu 0xfffe
	v_s_rcp_f32 s3, s3
	s_delay_alu instid0(TRANS32_DEP_1) | instskip(SKIP_1) | instid1(SALU_CYCLE_2)
	s_mul_f32 s3, s3, 0x5f7ffffc
	s_wait_alu 0xfffe
	s_mul_f32 s5, s3, 0x2f800000
	s_wait_alu 0xfffe
	s_delay_alu instid0(SALU_CYCLE_2) | instskip(SKIP_1) | instid1(SALU_CYCLE_2)
	s_trunc_f32 s5, s5
	s_wait_alu 0xfffe
	s_fmamk_f32 s3, s5, 0xcf800000, s3
	s_cvt_u32_f32 s7, s5
	s_wait_alu 0xfffe
	s_delay_alu instid0(SALU_CYCLE_1) | instskip(SKIP_1) | instid1(SALU_CYCLE_2)
	s_cvt_u32_f32 s6, s3
	s_wait_alu 0xfffe
	s_mul_u64 s[68:69], s[66:67], s[6:7]
	s_delay_alu instid0(SALU_CYCLE_1)
	s_mul_hi_u32 s71, s6, s69
	s_mul_i32 s70, s6, s69
	s_mul_hi_u32 s8, s6, s68
	s_mul_i32 s5, s7, s68
	s_wait_alu 0xfffe
	s_add_nc_u64 s[70:71], s[8:9], s[70:71]
	s_mul_hi_u32 s3, s7, s68
	s_mul_hi_u32 s65, s7, s69
	s_add_co_u32 s5, s70, s5
	s_wait_alu 0xfffe
	s_add_co_ci_u32 s8, s71, s3
	s_mul_i32 s68, s7, s69
	s_add_co_ci_u32 s69, s65, 0
	s_wait_alu 0xfffe
	s_add_nc_u64 s[68:69], s[8:9], s[68:69]
	s_delay_alu instid0(SALU_CYCLE_1)
	s_add_co_u32 s6, s6, s68
	s_cselect_b32 s3, -1, 0
	s_wait_alu 0xfffe
	s_cmp_lg_u32 s3, 0
	s_add_co_ci_u32 s7, s7, s69
	s_wait_alu 0xfffe
	s_mul_u64 s[66:67], s[66:67], s[6:7]
	s_delay_alu instid0(SALU_CYCLE_1)
	s_mul_hi_u32 s69, s6, s67
	s_mul_i32 s68, s6, s67
	s_mul_hi_u32 s8, s6, s66
	s_mul_i32 s5, s7, s66
	s_wait_alu 0xfffe
	s_add_nc_u64 s[68:69], s[8:9], s[68:69]
	s_mul_hi_u32 s3, s7, s66
	s_mul_hi_u32 s65, s7, s67
	s_add_co_u32 s5, s68, s5
	s_wait_alu 0xfffe
	s_add_co_ci_u32 s8, s69, s3
	s_mul_i32 s66, s7, s67
	s_add_co_ci_u32 s67, s65, 0
	s_wait_alu 0xfffe
	s_add_nc_u64 s[66:67], s[8:9], s[66:67]
	s_delay_alu instid0(SALU_CYCLE_1)
	s_add_co_u32 s3, s6, s66
	s_cselect_b32 s5, -1, 0
	s_wait_alu 0xfffe
	v_mul_hi_u32 v11, v18, s3
	s_cmp_lg_u32 s5, 0
	v_mad_co_u64_u32 v[22:23], null, v19, s3, 0
	s_add_co_ci_u32 s5, s7, s67
	s_wait_alu 0xfffe
	v_mad_co_u64_u32 v[20:21], null, v18, s5, 0
	v_mad_co_u64_u32 v[25:26], null, v19, s5, 0
	s_delay_alu instid0(VALU_DEP_2) | instskip(SKIP_1) | instid1(VALU_DEP_3)
	v_add_co_u32 v11, vcc_lo, v11, v20
	s_wait_alu 0xfffd
	v_add_co_ci_u32_e64 v20, null, 0, v21, vcc_lo
	s_delay_alu instid0(VALU_DEP_2) | instskip(SKIP_1) | instid1(VALU_DEP_2)
	v_add_co_u32 v11, vcc_lo, v11, v22
	s_wait_alu 0xfffd
	v_add_co_ci_u32_e32 v11, vcc_lo, v20, v23, vcc_lo
	s_wait_alu 0xfffd
	v_add_co_ci_u32_e32 v20, vcc_lo, 0, v26, vcc_lo
	s_delay_alu instid0(VALU_DEP_2) | instskip(SKIP_1) | instid1(VALU_DEP_2)
	v_add_co_u32 v11, vcc_lo, v11, v25
	s_wait_alu 0xfffd
	v_add_co_ci_u32_e64 v22, null, 0, v20, vcc_lo
	s_delay_alu instid0(VALU_DEP_2) | instskip(SKIP_1) | instid1(VALU_DEP_3)
	v_mul_lo_u32 v23, s41, v11
	v_mad_co_u64_u32 v[20:21], null, s40, v11, 0
	v_mul_lo_u32 v25, s40, v22
	s_delay_alu instid0(VALU_DEP_2) | instskip(NEXT) | instid1(VALU_DEP_2)
	v_sub_co_u32 v18, vcc_lo, v18, v20
	v_add3_u32 v21, v21, v25, v23
	s_delay_alu instid0(VALU_DEP_1) | instskip(SKIP_2) | instid1(VALU_DEP_2)
	v_sub_nc_u32_e32 v23, v19, v21
	s_wait_alu 0xfffd
	v_sub_co_ci_u32_e64 v19, null, v19, v21, vcc_lo
	v_subrev_co_ci_u32_e64 v20, null, s41, v23, vcc_lo
	v_add_co_u32 v23, s3, v11, 2
	s_wait_alu 0xf1ff
	v_add_co_ci_u32_e64 v25, null, 0, v22, s3
	v_sub_co_u32 v26, s3, v18, s40
	s_wait_alu 0xf1ff
	v_subrev_co_ci_u32_e64 v20, null, 0, v20, s3
	v_cmp_eq_u32_e64 s3, s41, v19
	s_delay_alu instid0(VALU_DEP_3)
	v_cmp_le_u32_e32 vcc_lo, s40, v26
	s_wait_alu 0xfffd
	v_cndmask_b32_e64 v21, 0, -1, vcc_lo
	v_cmp_le_u32_e32 vcc_lo, s41, v20
	s_wait_alu 0xfffd
	v_cndmask_b32_e64 v26, 0, -1, vcc_lo
	;; [unrolled: 3-line block ×4, first 2 shown]
	v_cmp_eq_u32_e32 vcc_lo, s41, v20
	s_wait_alu 0xf1ff
	s_delay_alu instid0(VALU_DEP_2)
	v_cndmask_b32_e64 v18, v27, v18, s3
	s_wait_alu 0xfffd
	v_cndmask_b32_e32 v20, v26, v21, vcc_lo
	v_add_co_u32 v21, vcc_lo, v11, 1
	s_wait_alu 0xfffd
	v_add_co_ci_u32_e64 v26, null, 0, v22, vcc_lo
	s_delay_alu instid0(VALU_DEP_3) | instskip(SKIP_1) | instid1(VALU_DEP_2)
	v_cmp_ne_u32_e32 vcc_lo, 0, v20
	s_wait_alu 0xfffd
	v_dual_cndmask_b32 v19, v26, v25 :: v_dual_cndmask_b32 v20, v21, v23
	v_cmp_ne_u32_e32 vcc_lo, 0, v18
                                        ; implicit-def: $vgpr18
	s_wait_alu 0xfffd
	s_delay_alu instid0(VALU_DEP_2)
	v_dual_cndmask_b32 v21, v22, v19 :: v_dual_cndmask_b32 v20, v11, v20
.LBB5_11:                               ;   in Loop: Header=BB5_9 Depth=2
	s_wait_alu 0xfffe
	s_and_not1_saveexec_b32 s3, s4
	s_cbranch_execz .LBB5_13
; %bb.12:                               ;   in Loop: Header=BB5_9 Depth=2
	v_cvt_f32_u32_e32 v11, s40
	s_sub_co_i32 s4, 0, s40
	v_mov_b32_e32 v21, v10
	s_delay_alu instid0(VALU_DEP_2) | instskip(NEXT) | instid1(TRANS32_DEP_1)
	v_rcp_iflag_f32_e32 v11, v11
	v_mul_f32_e32 v11, 0x4f7ffffe, v11
	s_delay_alu instid0(VALU_DEP_1) | instskip(SKIP_1) | instid1(VALU_DEP_1)
	v_cvt_u32_f32_e32 v11, v11
	s_wait_alu 0xfffe
	v_mul_lo_u32 v19, s4, v11
	s_delay_alu instid0(VALU_DEP_1) | instskip(NEXT) | instid1(VALU_DEP_1)
	v_mul_hi_u32 v19, v11, v19
	v_add_nc_u32_e32 v11, v11, v19
	s_delay_alu instid0(VALU_DEP_1) | instskip(NEXT) | instid1(VALU_DEP_1)
	v_mul_hi_u32 v11, v18, v11
	v_mul_lo_u32 v19, v11, s40
	s_delay_alu instid0(VALU_DEP_1) | instskip(SKIP_1) | instid1(VALU_DEP_2)
	v_sub_nc_u32_e32 v18, v18, v19
	v_add_nc_u32_e32 v19, 1, v11
	v_subrev_nc_u32_e32 v20, s40, v18
	v_cmp_le_u32_e32 vcc_lo, s40, v18
	s_wait_alu 0xfffd
	s_delay_alu instid0(VALU_DEP_2) | instskip(NEXT) | instid1(VALU_DEP_1)
	v_dual_cndmask_b32 v18, v18, v20 :: v_dual_cndmask_b32 v11, v11, v19
	v_cmp_le_u32_e32 vcc_lo, s40, v18
	s_delay_alu instid0(VALU_DEP_2) | instskip(SKIP_1) | instid1(VALU_DEP_1)
	v_add_nc_u32_e32 v19, 1, v11
	s_wait_alu 0xfffd
	v_cndmask_b32_e32 v20, v11, v19, vcc_lo
.LBB5_13:                               ;   in Loop: Header=BB5_9 Depth=2
	s_wait_alu 0xfffe
	s_or_b32 exec_lo, exec_lo, s3
	v_mad_co_i64_i32 v[22:23], null, s39, v43, 0
	v_ashrrev_i32_e32 v11, 31, v43
	s_mov_b32 s3, 0
	s_delay_alu instid0(VALU_DEP_2) | instskip(SKIP_1) | instid1(VALU_DEP_3)
	v_add_co_u32 v18, vcc_lo, s22, v22
	s_wait_alu 0xfffd
	v_add_co_ci_u32_e64 v19, null, s23, v23, vcc_lo
.LBB5_14:                               ;   Parent Loop BB5_6 Depth=1
                                        ;     Parent Loop BB5_9 Depth=2
                                        ; =>    This Inner Loop Header: Depth=3
	s_delay_alu instid0(VALU_DEP_2) | instskip(SKIP_1) | instid1(VALU_DEP_2)
	v_add_co_u32 v18, vcc_lo, v18, s34
	s_wait_alu 0xfffd
	v_add_co_ci_u32_e64 v19, null, s35, v19, vcc_lo
	s_delay_alu instid0(VALU_DEP_1)
	v_cmp_lt_i64_e32 vcc_lo, -1, v[18:19]
	s_wait_alu 0xfffe
	s_or_b32 s3, vcc_lo, s3
	s_wait_alu 0xfffe
	s_and_not1_b32 exec_lo, exec_lo, s3
	s_cbranch_execnz .LBB5_14
; %bb.15:                               ;   in Loop: Header=BB5_9 Depth=2
	s_or_b32 exec_lo, exec_lo, s3
	v_sub_co_u32 v22, vcc_lo, v22, s28
	s_wait_alu 0xfffd
	v_subrev_co_ci_u32_e64 v23, null, s29, v23, vcc_lo
	v_add_co_u32 v24, vcc_lo, v24, v20
	s_wait_alu 0xfffd
	v_add_co_ci_u32_e64 v25, null, 0, v21, vcc_lo
	v_add_co_u32 v20, vcc_lo, v22, s57
	s_wait_alu 0xfffd
	v_add_co_ci_u32_e64 v21, null, s58, v23, vcc_lo
	v_mul_lo_u32 v22, v24, s31
	v_mul_lo_u32 v23, v25, s30
	v_mad_co_u64_u32 v[12:13], null, v24, s30, v[12:13]
	s_delay_alu instid0(VALU_DEP_4) | instskip(SKIP_4) | instid1(VALU_DEP_4)
	v_cmp_gt_i64_e32 vcc_lo, s[16:17], v[20:21]
	s_mov_b32 s3, -1
	s_wait_alu 0xfffd
	v_cndmask_b32_e32 v21, s17, v21, vcc_lo
	v_cndmask_b32_e32 v20, s16, v20, vcc_lo
	v_add3_u32 v13, v23, v13, v22
	s_and_b32 vcc_lo, exec_lo, s59
	s_wait_alu 0xfffe
	s_cbranch_vccnz .LBB5_18
; %bb.16:                               ;   in Loop: Header=BB5_9 Depth=2
	s_and_b32 vcc_lo, exec_lo, s3
	s_wait_alu 0xfffe
	s_cbranch_vccnz .LBB5_64
.LBB5_17:                               ;   in Loop: Header=BB5_9 Depth=2
	s_and_saveexec_b32 s4, s2
	s_cbranch_execz .LBB5_8
	s_branch .LBB5_76
.LBB5_18:                               ;   in Loop: Header=BB5_9 Depth=2
	v_ashrrev_i32_e32 v29, 31, v12
	v_mul_lo_u32 v22, s25, v12
	v_mad_co_u64_u32 v[24:25], null, s24, v12, 0
	v_mov_b32_e32 v28, v12
	s_delay_alu instid0(VALU_DEP_4) | instskip(SKIP_2) | instid1(VALU_DEP_4)
	v_mul_lo_u32 v23, s24, v29
	v_mov_b32_e32 v44, 0
	v_mov_b32_e32 v46, 0
	v_cmp_le_i64_e32 vcc_lo, v[16:17], v[28:29]
	s_delay_alu instid0(VALU_DEP_4) | instskip(SKIP_2) | instid1(VALU_DEP_3)
	v_add3_u32 v25, v25, v23, v22
	v_ashrrev_i32_e32 v23, 31, v18
	v_mov_b32_e32 v22, v18
	v_lshlrev_b64_e32 v[24:25], 2, v[24:25]
	s_delay_alu instid0(VALU_DEP_3) | instskip(NEXT) | instid1(VALU_DEP_3)
	v_mul_lo_u32 v53, s26, v23
	v_cmp_le_i64_e64 s5, v[20:21], v[22:23]
	v_mul_lo_u32 v51, s27, v22
	s_delay_alu instid0(VALU_DEP_4)
	v_add_co_u32 v30, s3, v36, v24
	s_wait_alu 0xf1ff
	v_add_co_ci_u32_e64 v31, null, v37, v25, s3
	s_or_b32 s3, vcc_lo, s5
	s_wait_alu 0xfffe
	s_nor_b32 s3, s3, s1
	s_wait_alu 0xfffe
	s_and_saveexec_b32 s4, s3
	s_cbranch_execz .LBB5_20
; %bb.19:                               ;   in Loop: Header=BB5_9 Depth=2
	v_mad_co_u64_u32 v[24:25], null, s26, v22, 0
	s_delay_alu instid0(VALU_DEP_1) | instskip(NEXT) | instid1(VALU_DEP_1)
	v_add3_u32 v25, v25, v53, v51
	v_lshlrev_b64_e32 v[24:25], 2, v[24:25]
	s_delay_alu instid0(VALU_DEP_1) | instskip(SKIP_1) | instid1(VALU_DEP_2)
	v_add_co_u32 v24, s3, v30, v24
	s_wait_alu 0xf1ff
	v_add_co_ci_u32_e64 v25, null, v31, v25, s3
	global_load_b32 v46, v[24:25], off
.LBB5_20:                               ;   in Loop: Header=BB5_9 Depth=2
	s_wait_alu 0xfffe
	s_or_b32 exec_lo, exec_lo, s4
	v_add_nc_u32_e32 v24, s43, v18
	s_delay_alu instid0(VALU_DEP_1) | instskip(SKIP_1) | instid1(VALU_DEP_2)
	v_ashrrev_i32_e32 v25, 31, v24
	v_mul_lo_u32 v54, s27, v24
	v_cmp_le_i64_e64 s6, v[20:21], v[24:25]
	v_mul_lo_u32 v55, s26, v25
	s_or_b32 s3, vcc_lo, s6
	s_wait_alu 0xfffe
	s_nor_b32 s3, s3, s1
	s_wait_alu 0xfffe
	s_and_saveexec_b32 s4, s3
	s_cbranch_execz .LBB5_22
; %bb.21:                               ;   in Loop: Header=BB5_9 Depth=2
	v_mad_co_u64_u32 v[26:27], null, s26, v24, 0
	s_delay_alu instid0(VALU_DEP_1) | instskip(NEXT) | instid1(VALU_DEP_1)
	v_add3_u32 v27, v27, v55, v54
	v_lshlrev_b64_e32 v[26:27], 2, v[26:27]
	s_delay_alu instid0(VALU_DEP_1) | instskip(SKIP_1) | instid1(VALU_DEP_2)
	v_add_co_u32 v26, s3, v30, v26
	s_wait_alu 0xf1ff
	v_add_co_ci_u32_e64 v27, null, v31, v27, s3
	global_load_b32 v44, v[26:27], off
.LBB5_22:                               ;   in Loop: Header=BB5_9 Depth=2
	s_wait_alu 0xfffe
	s_or_b32 exec_lo, exec_lo, s4
	v_dual_mov_b32 v45, 0 :: v_dual_add_nc_u32 v26, s43, v24
	v_mov_b32_e32 v49, 0
	s_delay_alu instid0(VALU_DEP_2) | instskip(SKIP_1) | instid1(VALU_DEP_2)
	v_ashrrev_i32_e32 v27, 31, v26
	v_mul_lo_u32 v56, s27, v26
	v_cmp_le_i64_e64 s7, v[20:21], v[26:27]
	v_mul_lo_u32 v57, s26, v27
	s_or_b32 s3, vcc_lo, s7
	s_wait_alu 0xfffe
	s_nor_b32 s3, s3, s1
	s_wait_alu 0xfffe
	s_and_saveexec_b32 s4, s3
	s_cbranch_execz .LBB5_24
; %bb.23:                               ;   in Loop: Header=BB5_9 Depth=2
	v_mad_co_u64_u32 v[32:33], null, s26, v26, 0
	s_delay_alu instid0(VALU_DEP_1) | instskip(NEXT) | instid1(VALU_DEP_1)
	v_add3_u32 v33, v33, v57, v56
	v_lshlrev_b64_e32 v[32:33], 2, v[32:33]
	s_delay_alu instid0(VALU_DEP_1) | instskip(SKIP_1) | instid1(VALU_DEP_2)
	v_add_co_u32 v30, s3, v30, v32
	s_wait_alu 0xf1ff
	v_add_co_ci_u32_e64 v31, null, v31, v33, s3
	global_load_b32 v49, v[30:31], off
.LBB5_24:                               ;   in Loop: Header=BB5_9 Depth=2
	s_wait_alu 0xfffe
	s_or_b32 exec_lo, exec_lo, s4
	v_add_nc_u32_e32 v30, s42, v12
	s_delay_alu instid0(VALU_DEP_1) | instskip(SKIP_2) | instid1(VALU_DEP_3)
	v_ashrrev_i32_e32 v31, 31, v30
	v_mul_lo_u32 v47, s25, v30
	v_mad_co_u64_u32 v[32:33], null, s24, v30, 0
	v_mul_lo_u32 v48, s24, v31
	v_cmp_le_i64_e64 s3, v[16:17], v[30:31]
	s_delay_alu instid0(VALU_DEP_2) | instskip(NEXT) | instid1(VALU_DEP_1)
	v_add3_u32 v33, v33, v48, v47
	v_lshlrev_b64_e32 v[32:33], 2, v[32:33]
	s_delay_alu instid0(VALU_DEP_1) | instskip(SKIP_1) | instid1(VALU_DEP_2)
	v_add_co_u32 v32, s4, v36, v32
	s_wait_alu 0xf1ff
	v_add_co_ci_u32_e64 v33, null, v37, v33, s4
	s_or_b32 s4, s3, s5
	s_wait_alu 0xfffe
	s_nor_b32 s4, s4, s1
	s_wait_alu 0xfffe
	s_and_saveexec_b32 s8, s4
	s_cbranch_execz .LBB5_26
; %bb.25:                               ;   in Loop: Header=BB5_9 Depth=2
	v_mad_co_u64_u32 v[47:48], null, s26, v22, 0
	s_delay_alu instid0(VALU_DEP_1) | instskip(NEXT) | instid1(VALU_DEP_1)
	v_add3_u32 v48, v48, v53, v51
	v_lshlrev_b64_e32 v[47:48], 2, v[47:48]
	s_delay_alu instid0(VALU_DEP_1) | instskip(SKIP_1) | instid1(VALU_DEP_2)
	v_add_co_u32 v47, s4, v32, v47
	s_wait_alu 0xf1ff
	v_add_co_ci_u32_e64 v48, null, v33, v48, s4
	global_load_b32 v45, v[47:48], off
.LBB5_26:                               ;   in Loop: Header=BB5_9 Depth=2
	s_wait_alu 0xfffe
	s_or_b32 exec_lo, exec_lo, s8
	v_dual_mov_b32 v47, 0 :: v_dual_mov_b32 v50, 0
	s_or_b32 s4, s3, s6
	s_wait_alu 0xfffe
	s_nor_b32 s4, s4, s1
	s_wait_alu 0xfffe
	s_and_saveexec_b32 s8, s4
	s_cbranch_execz .LBB5_28
; %bb.27:                               ;   in Loop: Header=BB5_9 Depth=2
	v_mad_co_u64_u32 v[58:59], null, s26, v24, 0
	s_delay_alu instid0(VALU_DEP_1) | instskip(NEXT) | instid1(VALU_DEP_1)
	v_add3_u32 v59, v59, v55, v54
	v_lshlrev_b64_e32 v[58:59], 2, v[58:59]
	s_delay_alu instid0(VALU_DEP_1) | instskip(SKIP_1) | instid1(VALU_DEP_2)
	v_add_co_u32 v58, s4, v32, v58
	s_wait_alu 0xf1ff
	v_add_co_ci_u32_e64 v59, null, v33, v59, s4
	global_load_b32 v50, v[58:59], off
.LBB5_28:                               ;   in Loop: Header=BB5_9 Depth=2
	s_wait_alu 0xfffe
	s_or_b32 exec_lo, exec_lo, s8
	s_or_b32 s4, s3, s7
	s_wait_alu 0xfffe
	s_nor_b32 s4, s4, s1
	s_wait_alu 0xfffe
	s_and_saveexec_b32 s8, s4
	s_cbranch_execz .LBB5_30
; %bb.29:                               ;   in Loop: Header=BB5_9 Depth=2
	v_mad_co_u64_u32 v[47:48], null, s26, v26, 0
	s_delay_alu instid0(VALU_DEP_1) | instskip(NEXT) | instid1(VALU_DEP_1)
	v_add3_u32 v48, v48, v57, v56
	v_lshlrev_b64_e32 v[47:48], 2, v[47:48]
	s_delay_alu instid0(VALU_DEP_1) | instskip(SKIP_1) | instid1(VALU_DEP_2)
	v_add_co_u32 v32, s4, v32, v47
	s_wait_alu 0xf1ff
	v_add_co_ci_u32_e64 v33, null, v33, v48, s4
	global_load_b32 v47, v[32:33], off
.LBB5_30:                               ;   in Loop: Header=BB5_9 Depth=2
	s_wait_alu 0xfffe
	s_or_b32 exec_lo, exec_lo, s8
	v_add_nc_u32_e32 v32, s42, v30
	s_delay_alu instid0(VALU_DEP_1) | instskip(SKIP_2) | instid1(VALU_DEP_3)
	v_ashrrev_i32_e32 v33, 31, v32
	v_mul_lo_u32 v48, s25, v32
	v_mad_co_u64_u32 v[58:59], null, s24, v32, 0
	v_mul_lo_u32 v52, s24, v33
	v_cmp_le_i64_e64 s4, v[16:17], v[32:33]
	s_delay_alu instid0(VALU_DEP_2) | instskip(SKIP_2) | instid1(VALU_DEP_3)
	v_add3_u32 v59, v59, v52, v48
	v_mov_b32_e32 v48, 0
	v_mov_b32_e32 v52, 0
	v_lshlrev_b64_e32 v[58:59], 2, v[58:59]
	s_delay_alu instid0(VALU_DEP_1) | instskip(SKIP_1) | instid1(VALU_DEP_2)
	v_add_co_u32 v58, s8, v36, v58
	s_wait_alu 0xf1ff
	v_add_co_ci_u32_e64 v59, null, v37, v59, s8
	s_or_b32 s8, s4, s5
	s_wait_alu 0xfffe
	s_nor_b32 s8, s8, s1
	s_wait_alu 0xfffe
	s_and_saveexec_b32 s65, s8
	s_cbranch_execz .LBB5_32
; %bb.31:                               ;   in Loop: Header=BB5_9 Depth=2
	v_mad_co_u64_u32 v[60:61], null, s26, v22, 0
	s_delay_alu instid0(VALU_DEP_1) | instskip(NEXT) | instid1(VALU_DEP_1)
	v_add3_u32 v61, v61, v53, v51
	v_lshlrev_b64_e32 v[51:52], 2, v[60:61]
	s_delay_alu instid0(VALU_DEP_1) | instskip(SKIP_1) | instid1(VALU_DEP_2)
	v_add_co_u32 v51, s8, v58, v51
	s_wait_alu 0xf1ff
	v_add_co_ci_u32_e64 v52, null, v59, v52, s8
	global_load_b32 v52, v[51:52], off
.LBB5_32:                               ;   in Loop: Header=BB5_9 Depth=2
	s_or_b32 exec_lo, exec_lo, s65
	s_or_b32 s8, s4, s6
	s_wait_alu 0xfffe
	s_nor_b32 s8, s8, s1
	s_wait_alu 0xfffe
	s_and_saveexec_b32 s65, s8
	s_cbranch_execz .LBB5_34
; %bb.33:                               ;   in Loop: Header=BB5_9 Depth=2
	v_mad_co_u64_u32 v[60:61], null, s26, v24, 0
	s_delay_alu instid0(VALU_DEP_1) | instskip(NEXT) | instid1(VALU_DEP_1)
	v_add3_u32 v61, v61, v55, v54
	v_lshlrev_b64_e32 v[53:54], 2, v[60:61]
	s_delay_alu instid0(VALU_DEP_1) | instskip(SKIP_1) | instid1(VALU_DEP_2)
	v_add_co_u32 v53, s8, v58, v53
	s_wait_alu 0xf1ff
	v_add_co_ci_u32_e64 v54, null, v59, v54, s8
	global_load_b32 v48, v[53:54], off
.LBB5_34:                               ;   in Loop: Header=BB5_9 Depth=2
	s_or_b32 exec_lo, exec_lo, s65
	v_mov_b32_e32 v51, 0
	s_or_b32 s8, s4, s7
	s_wait_alu 0xfffe
	s_nor_b32 s8, s8, s1
	s_wait_alu 0xfffe
	s_and_saveexec_b32 s65, s8
	s_cbranch_execz .LBB5_36
; %bb.35:                               ;   in Loop: Header=BB5_9 Depth=2
	v_mad_co_u64_u32 v[53:54], null, s26, v26, 0
	s_delay_alu instid0(VALU_DEP_1) | instskip(NEXT) | instid1(VALU_DEP_1)
	v_add3_u32 v54, v54, v57, v56
	v_lshlrev_b64_e32 v[53:54], 2, v[53:54]
	s_delay_alu instid0(VALU_DEP_1) | instskip(SKIP_1) | instid1(VALU_DEP_2)
	v_add_co_u32 v53, s8, v58, v53
	s_wait_alu 0xf1ff
	v_add_co_ci_u32_e64 v54, null, v59, v54, s8
	global_load_b32 v51, v[53:54], off
.LBB5_36:                               ;   in Loop: Header=BB5_9 Depth=2
	s_or_b32 exec_lo, exec_lo, s65
	v_mul_lo_u32 v53, s17, v28
	v_mul_lo_u32 v54, s16, v29
	v_mad_co_u64_u32 v[28:29], null, s16, v28, 0
	s_or_b32 s65, s1, s5
	s_delay_alu instid0(SALU_CYCLE_1)
	s_nor_b32 s5, vcc_lo, s65
	v_add3_u32 v29, v29, v54, v53
	s_wait_alu 0xfffe
	s_and_saveexec_b32 s66, s5
	s_cbranch_execz .LBB5_39
; %bb.37:                               ;   in Loop: Header=BB5_9 Depth=2
	ds_load_b32 v53, v38
	s_wait_loadcnt 0x0
	v_cmp_u_f32_e64 s8, v46, v46
	s_wait_dscnt 0x0
	v_cmp_gt_f32_e64 s5, v46, v53
	s_or_b32 s5, s8, s5
	s_wait_alu 0xfffe
	s_and_b32 exec_lo, exec_lo, s5
	s_cbranch_execz .LBB5_39
; %bb.38:                               ;   in Loop: Header=BB5_9 Depth=2
	v_add_co_u32 v53, s5, v28, v22
	s_wait_alu 0xf1ff
	v_add_co_ci_u32_e64 v54, null, v29, v23, s5
	ds_store_b32 v38, v46
	ds_store_b64 v39, v[53:54]
.LBB5_39:                               ;   in Loop: Header=BB5_9 Depth=2
	s_or_b32 exec_lo, exec_lo, s66
	s_or_b32 s8, s1, s6
	s_wait_alu 0xfffe
	s_nor_b32 s5, vcc_lo, s8
	s_wait_alu 0xfffe
	s_and_saveexec_b32 s66, s5
	s_cbranch_execz .LBB5_42
; %bb.40:                               ;   in Loop: Header=BB5_9 Depth=2
	s_wait_loadcnt 0x0
	ds_load_b32 v46, v38
	v_cmp_u_f32_e64 s6, v44, v44
	s_wait_dscnt 0x0
	v_cmp_gt_f32_e64 s5, v44, v46
	s_or_b32 s5, s6, s5
	s_wait_alu 0xfffe
	s_and_b32 exec_lo, exec_lo, s5
	s_cbranch_execz .LBB5_42
; %bb.41:                               ;   in Loop: Header=BB5_9 Depth=2
	v_add_co_u32 v53, s5, v28, v24
	s_wait_alu 0xf1ff
	v_add_co_ci_u32_e64 v54, null, v29, v25, s5
	ds_store_b32 v38, v44
	ds_store_b64 v39, v[53:54]
.LBB5_42:                               ;   in Loop: Header=BB5_9 Depth=2
	s_or_b32 exec_lo, exec_lo, s66
	s_or_b32 s6, s1, s7
	s_wait_alu 0xfffe
	s_nor_b32 s5, vcc_lo, s6
	s_wait_alu 0xfffe
	s_and_saveexec_b32 s7, s5
	s_cbranch_execz .LBB5_45
; %bb.43:                               ;   in Loop: Header=BB5_9 Depth=2
	s_wait_loadcnt 0x0
	ds_load_b32 v44, v38
	v_cmp_u_f32_e64 s5, v49, v49
	s_wait_dscnt 0x0
	v_cmp_gt_f32_e32 vcc_lo, v49, v44
	s_or_b32 s5, s5, vcc_lo
	s_wait_alu 0xfffe
	s_and_b32 exec_lo, exec_lo, s5
	s_cbranch_execz .LBB5_45
; %bb.44:                               ;   in Loop: Header=BB5_9 Depth=2
	v_add_co_u32 v28, vcc_lo, v28, v26
	s_wait_alu 0xfffd
	v_add_co_ci_u32_e64 v29, null, v29, v27, vcc_lo
	ds_store_b32 v38, v49
	ds_store_b64 v39, v[28:29]
.LBB5_45:                               ;   in Loop: Header=BB5_9 Depth=2
	s_wait_alu 0xfffe
	s_or_b32 exec_lo, exec_lo, s7
	s_wait_loadcnt 0x0
	v_mul_lo_u32 v44, s17, v30
	v_mul_lo_u32 v31, s16, v31
	v_mad_co_u64_u32 v[28:29], null, s16, v30, 0
	s_nor_b32 s5, s3, s65
	v_add3_u32 v29, v29, v31, v44
	s_wait_alu 0xfffe
	s_and_saveexec_b32 s7, s5
	s_cbranch_execz .LBB5_48
; %bb.46:                               ;   in Loop: Header=BB5_9 Depth=2
	ds_load_b32 v30, v38
	v_cmp_u_f32_e64 s5, v45, v45
	s_wait_dscnt 0x0
	v_cmp_gt_f32_e32 vcc_lo, v45, v30
	s_or_b32 s5, s5, vcc_lo
	s_wait_alu 0xfffe
	s_and_b32 exec_lo, exec_lo, s5
	s_cbranch_execz .LBB5_48
; %bb.47:                               ;   in Loop: Header=BB5_9 Depth=2
	v_add_co_u32 v30, vcc_lo, v28, v22
	s_wait_alu 0xfffd
	v_add_co_ci_u32_e64 v31, null, v29, v23, vcc_lo
	ds_store_b32 v38, v45
	ds_store_b64 v39, v[30:31]
.LBB5_48:                               ;   in Loop: Header=BB5_9 Depth=2
	s_wait_alu 0xfffe
	s_or_b32 exec_lo, exec_lo, s7
	s_nor_b32 s5, s3, s8
	s_wait_alu 0xfffe
	s_and_saveexec_b32 s7, s5
	s_cbranch_execz .LBB5_51
; %bb.49:                               ;   in Loop: Header=BB5_9 Depth=2
	ds_load_b32 v30, v38
	v_cmp_u_f32_e64 s5, v50, v50
	s_wait_dscnt 0x0
	v_cmp_gt_f32_e32 vcc_lo, v50, v30
	s_or_b32 s5, s5, vcc_lo
	s_wait_alu 0xfffe
	s_and_b32 exec_lo, exec_lo, s5
	s_cbranch_execz .LBB5_51
; %bb.50:                               ;   in Loop: Header=BB5_9 Depth=2
	v_add_co_u32 v30, vcc_lo, v28, v24
	s_wait_alu 0xfffd
	v_add_co_ci_u32_e64 v31, null, v29, v25, vcc_lo
	ds_store_b32 v38, v50
	ds_store_b64 v39, v[30:31]
.LBB5_51:                               ;   in Loop: Header=BB5_9 Depth=2
	s_wait_alu 0xfffe
	s_or_b32 exec_lo, exec_lo, s7
	s_nor_b32 s3, s3, s6
	s_wait_alu 0xfffe
	s_and_saveexec_b32 s5, s3
	s_cbranch_execz .LBB5_54
; %bb.52:                               ;   in Loop: Header=BB5_9 Depth=2
	ds_load_b32 v30, v38
	v_cmp_u_f32_e64 s3, v47, v47
	s_wait_dscnt 0x0
	v_cmp_gt_f32_e32 vcc_lo, v47, v30
	s_or_b32 s3, s3, vcc_lo
	s_wait_alu 0xfffe
	s_and_b32 exec_lo, exec_lo, s3
	s_cbranch_execz .LBB5_54
; %bb.53:                               ;   in Loop: Header=BB5_9 Depth=2
	v_add_co_u32 v28, vcc_lo, v28, v26
	s_wait_alu 0xfffd
	v_add_co_ci_u32_e64 v29, null, v29, v27, vcc_lo
	ds_store_b32 v38, v47
	ds_store_b64 v39, v[28:29]
.LBB5_54:                               ;   in Loop: Header=BB5_9 Depth=2
	s_wait_alu 0xfffe
	s_or_b32 exec_lo, exec_lo, s5
	v_mul_lo_u32 v30, s17, v32
	v_mul_lo_u32 v31, s16, v33
	v_mad_co_u64_u32 v[28:29], null, s16, v32, 0
	s_nor_b32 s3, s4, s65
	v_add3_u32 v29, v29, v31, v30
	s_wait_alu 0xfffe
	s_and_saveexec_b32 s5, s3
	s_cbranch_execz .LBB5_57
; %bb.55:                               ;   in Loop: Header=BB5_9 Depth=2
	ds_load_b32 v30, v38
	v_cmp_u_f32_e64 s3, v52, v52
	s_wait_dscnt 0x0
	v_cmp_gt_f32_e32 vcc_lo, v52, v30
	s_or_b32 s3, s3, vcc_lo
	s_wait_alu 0xfffe
	s_and_b32 exec_lo, exec_lo, s3
	s_cbranch_execz .LBB5_57
; %bb.56:                               ;   in Loop: Header=BB5_9 Depth=2
	v_add_co_u32 v22, vcc_lo, v28, v22
	s_wait_alu 0xfffd
	v_add_co_ci_u32_e64 v23, null, v29, v23, vcc_lo
	ds_store_b32 v38, v52
	ds_store_b64 v39, v[22:23]
.LBB5_57:                               ;   in Loop: Header=BB5_9 Depth=2
	s_wait_alu 0xfffe
	s_or_b32 exec_lo, exec_lo, s5
	s_nor_b32 s3, s4, s8
	s_wait_alu 0xfffe
	s_and_saveexec_b32 s5, s3
	s_cbranch_execz .LBB5_60
; %bb.58:                               ;   in Loop: Header=BB5_9 Depth=2
	ds_load_b32 v22, v38
	v_cmp_u_f32_e64 s3, v48, v48
	s_wait_dscnt 0x0
	v_cmp_gt_f32_e32 vcc_lo, v48, v22
	s_or_b32 s3, s3, vcc_lo
	s_wait_alu 0xfffe
	s_and_b32 exec_lo, exec_lo, s3
	s_cbranch_execz .LBB5_60
; %bb.59:                               ;   in Loop: Header=BB5_9 Depth=2
	v_add_co_u32 v22, vcc_lo, v28, v24
	s_wait_alu 0xfffd
	v_add_co_ci_u32_e64 v23, null, v29, v25, vcc_lo
	ds_store_b32 v38, v48
	ds_store_b64 v39, v[22:23]
.LBB5_60:                               ;   in Loop: Header=BB5_9 Depth=2
	s_wait_alu 0xfffe
	s_or_b32 exec_lo, exec_lo, s5
	s_nor_b32 s3, s4, s6
	s_wait_alu 0xfffe
	s_and_saveexec_b32 s4, s3
	s_cbranch_execz .LBB5_63
; %bb.61:                               ;   in Loop: Header=BB5_9 Depth=2
	ds_load_b32 v22, v38
	v_cmp_u_f32_e64 s3, v51, v51
	s_wait_dscnt 0x0
	v_cmp_gt_f32_e32 vcc_lo, v51, v22
	s_or_b32 s3, s3, vcc_lo
	s_wait_alu 0xfffe
	s_and_b32 exec_lo, exec_lo, s3
	s_cbranch_execz .LBB5_63
; %bb.62:                               ;   in Loop: Header=BB5_9 Depth=2
	v_add_co_u32 v22, vcc_lo, v28, v26
	s_wait_alu 0xfffd
	v_add_co_ci_u32_e64 v23, null, v29, v27, vcc_lo
	ds_store_b32 v38, v51
	ds_store_b64 v39, v[22:23]
.LBB5_63:                               ;   in Loop: Header=BB5_9 Depth=2
	s_wait_alu 0xfffe
	s_or_b32 exec_lo, exec_lo, s4
	s_branch .LBB5_17
.LBB5_64:                               ;   in Loop: Header=BB5_9 Depth=2
	s_mov_b32 s5, exec_lo
	v_cmpx_lt_i64_e64 v[12:13], v[16:17]
	s_cbranch_execz .LBB5_75
; %bb.65:                               ;   in Loop: Header=BB5_9 Depth=2
	v_dual_mov_b32 v23, v13 :: v_dual_mov_b32 v22, v12
	s_mov_b32 s6, 0
	v_cmp_lt_i64_e32 vcc_lo, v[18:19], v[20:21]
	s_branch .LBB5_67
.LBB5_66:                               ;   in Loop: Header=BB5_67 Depth=3
	s_wait_alu 0xfffe
	s_or_b32 exec_lo, exec_lo, s7
	v_add_co_u32 v22, s3, v22, s30
	s_wait_alu 0xf1ff
	v_add_co_ci_u32_e64 v23, null, s31, v23, s3
	s_delay_alu instid0(VALU_DEP_1)
	v_cmp_ge_i64_e64 s3, v[22:23], v[16:17]
	s_or_b32 s6, s3, s6
	s_wait_alu 0xfffe
	s_and_not1_b32 exec_lo, exec_lo, s6
	s_cbranch_execz .LBB5_75
.LBB5_67:                               ;   Parent Loop BB5_6 Depth=1
                                        ;     Parent Loop BB5_9 Depth=2
                                        ; =>    This Loop Header: Depth=3
                                        ;         Child Loop BB5_70 Depth 4
                                        ;           Child Loop BB5_73 Depth 5
	s_and_saveexec_b32 s7, vcc_lo
	s_cbranch_execz .LBB5_66
; %bb.68:                               ;   in Loop: Header=BB5_67 Depth=3
	v_mul_lo_u32 v24, v23, s24
	v_mul_lo_u32 v25, v22, s25
	v_mad_co_u64_u32 v[26:27], null, v22, s24, 0
	v_mul_lo_u32 v28, v23, s16
	v_mul_lo_u32 v29, v22, s17
	s_mov_b32 s8, 0
	s_delay_alu instid0(VALU_DEP_3) | instskip(SKIP_1) | instid1(VALU_DEP_2)
	v_add3_u32 v27, v27, v25, v24
	v_mad_co_u64_u32 v[24:25], null, v22, s16, 0
	v_lshlrev_b64_e32 v[26:27], 2, v[26:27]
	s_delay_alu instid0(VALU_DEP_2) | instskip(NEXT) | instid1(VALU_DEP_2)
	v_add3_u32 v25, v25, v29, v28
	v_add_co_u32 v44, s3, s20, v26
	s_wait_alu 0xf1ff
	s_delay_alu instid0(VALU_DEP_3)
	v_add_co_ci_u32_e64 v45, null, s21, v27, s3
	v_dual_mov_b32 v27, v19 :: v_dual_mov_b32 v26, v18
	s_branch .LBB5_70
.LBB5_69:                               ;   in Loop: Header=BB5_70 Depth=4
	s_or_b32 exec_lo, exec_lo, s65
	v_add_co_u32 v26, s3, v26, s34
	s_wait_alu 0xf1ff
	v_add_co_ci_u32_e64 v27, null, s35, v27, s3
	s_delay_alu instid0(VALU_DEP_1)
	v_cmp_ge_i64_e64 s3, v[26:27], v[20:21]
	s_wait_alu 0xfffe
	s_or_b32 s8, s3, s8
	s_wait_alu 0xfffe
	s_and_not1_b32 exec_lo, exec_lo, s8
	s_cbranch_execz .LBB5_66
.LBB5_70:                               ;   Parent Loop BB5_6 Depth=1
                                        ;     Parent Loop BB5_9 Depth=2
                                        ;       Parent Loop BB5_67 Depth=3
                                        ; =>      This Loop Header: Depth=4
                                        ;           Child Loop BB5_73 Depth 5
	s_and_saveexec_b32 s65, s2
	s_cbranch_execz .LBB5_69
; %bb.71:                               ;   in Loop: Header=BB5_70 Depth=4
	s_delay_alu instid0(VALU_DEP_1) | instskip(SKIP_4) | instid1(VALU_DEP_2)
	v_mul_lo_u32 v30, v27, s26
	v_mul_lo_u32 v31, v26, s27
	v_mad_co_u64_u32 v[28:29], null, v26, s26, 0
	v_dual_mov_b32 v46, v41 :: v_dual_mov_b32 v47, v40
	s_mov_b32 s66, 0
	v_add3_u32 v29, v29, v31, v30
	v_dual_mov_b32 v31, v5 :: v_dual_mov_b32 v30, v4
	s_delay_alu instid0(VALU_DEP_2) | instskip(SKIP_3) | instid1(VALU_DEP_3)
	v_lshlrev_b64_e32 v[32:33], 2, v[28:29]
	v_add_co_u32 v28, s3, v26, v24
	s_wait_alu 0xf1ff
	v_add_co_ci_u32_e64 v29, null, v27, v25, s3
	v_add_co_u32 v48, s3, v44, v32
	s_wait_alu 0xf1ff
	v_add_co_ci_u32_e64 v49, null, v45, v33, s3
	v_dual_mov_b32 v33, v3 :: v_dual_mov_b32 v32, v2
	s_branch .LBB5_73
.LBB5_72:                               ;   in Loop: Header=BB5_73 Depth=5
	s_wait_alu 0xfffe
	s_or_b32 exec_lo, exec_lo, s3
	v_add_co_u32 v32, s3, v32, s36
	s_wait_alu 0xf1ff
	v_add_co_ci_u32_e64 v33, null, s37, v33, s3
	v_add_co_u32 v30, s4, v30, s44
	s_wait_alu 0xf1ff
	v_add_co_ci_u32_e64 v31, null, s45, v31, s4
	s_delay_alu instid0(VALU_DEP_3) | instskip(SKIP_3) | instid1(SALU_CYCLE_1)
	v_cmp_le_i64_e64 s3, s[12:13], v[32:33]
	v_add_nc_u32_e32 v47, s60, v47
	v_add_nc_u32_e32 v46, s61, v46
	s_or_b32 s66, s3, s66
	s_and_not1_b32 exec_lo, exec_lo, s66
	s_cbranch_execz .LBB5_69
.LBB5_73:                               ;   Parent Loop BB5_6 Depth=1
                                        ;     Parent Loop BB5_9 Depth=2
                                        ;       Parent Loop BB5_67 Depth=3
                                        ;         Parent Loop BB5_70 Depth=4
                                        ; =>        This Inner Loop Header: Depth=5
	v_lshlrev_b64_e32 v[50:51], 2, v[30:31]
	s_delay_alu instid0(VALU_DEP_1) | instskip(SKIP_1) | instid1(VALU_DEP_2)
	v_add_co_u32 v50, s3, v48, v50
	s_wait_alu 0xf1ff
	v_add_co_ci_u32_e64 v51, null, v49, v51, s3
	global_load_b32 v50, v[50:51], off
	ds_load_b32 v51, v47
	s_wait_loadcnt_dscnt 0x0
	v_cmp_gt_f32_e64 s3, v50, v51
	v_cmp_u_f32_e64 s4, v50, v50
	s_or_b32 s4, s4, s3
	s_wait_alu 0xfffe
	s_and_saveexec_b32 s3, s4
	s_cbranch_execz .LBB5_72
; %bb.74:                               ;   in Loop: Header=BB5_73 Depth=5
	ds_store_b32 v47, v50
	ds_store_b64 v46, v[28:29]
	s_branch .LBB5_72
.LBB5_75:                               ;   in Loop: Header=BB5_9 Depth=2
	s_wait_alu 0xfffe
	s_or_b32 exec_lo, exec_lo, s5
	s_and_saveexec_b32 s4, s2
	s_cbranch_execz .LBB5_8
.LBB5_76:                               ;   in Loop: Header=BB5_9 Depth=2
	v_add_co_u32 v18, vcc_lo, v14, v43
	s_wait_alu 0xfffd
	v_add_co_ci_u32_e64 v19, null, v15, v11, vcc_lo
	v_mov_b32_e32 v24, v41
	s_mov_b32 s5, 0
	s_delay_alu instid0(VALU_DEP_2) | instskip(SKIP_1) | instid1(VALU_DEP_2)
	v_lshlrev_b64_e32 v[20:21], 3, v[18:19]
	v_lshlrev_b64_e32 v[18:19], 2, v[18:19]
	v_add_co_u32 v11, vcc_lo, s18, v20
	s_wait_alu 0xfffd
	s_delay_alu instid0(VALU_DEP_3) | instskip(NEXT) | instid1(VALU_DEP_3)
	v_add_co_ci_u32_e64 v20, null, s19, v21, vcc_lo
	v_add_co_u32 v21, vcc_lo, s48, v18
	s_wait_alu 0xfffd
	v_add_co_ci_u32_e64 v22, null, s49, v19, vcc_lo
	s_delay_alu instid0(VALU_DEP_3) | instskip(SKIP_2) | instid1(VALU_DEP_4)
	v_mul_lo_u32 v23, s12, v20
	v_mul_lo_u32 v25, s13, v11
	v_mad_co_u64_u32 v[18:19], null, s12, v11, v[6:7]
	v_mul_lo_u32 v11, s12, v22
	v_mul_lo_u32 v22, s13, v21
	v_mad_co_u64_u32 v[20:21], null, s12, v21, v[8:9]
	s_delay_alu instid0(VALU_DEP_4) | instskip(SKIP_1) | instid1(VALU_DEP_3)
	v_add3_u32 v19, v25, v19, v23
	v_mov_b32_e32 v25, v40
	v_add3_u32 v21, v22, v21, v11
	v_dual_mov_b32 v23, v3 :: v_dual_mov_b32 v22, v2
.LBB5_77:                               ;   Parent Loop BB5_6 Depth=1
                                        ;     Parent Loop BB5_9 Depth=2
                                        ; =>    This Inner Loop Header: Depth=3
	ds_load_b32 v28, v25
	ds_load_b64 v[26:27], v24
	v_add_co_u32 v22, vcc_lo, v22, s36
	v_mov_b32_e32 v11, v10
	s_wait_alu 0xfffd
	v_add_co_ci_u32_e64 v23, null, s37, v23, vcc_lo
	ds_store_b32 v25, v42
	v_add_nc_u32_e32 v25, s60, v25
	ds_store_b64 v24, v[10:11]
	v_cmp_le_i64_e32 vcc_lo, s[12:13], v[22:23]
	v_add_nc_u32_e32 v24, s61, v24
	s_wait_dscnt 0x3
	global_store_b32 v[20:21], v28, off
	s_wait_dscnt 0x2
	global_store_b64 v[18:19], v[26:27], off
	v_add_co_u32 v18, s3, v18, s46
	s_wait_alu 0xf1ff
	v_add_co_ci_u32_e64 v19, null, s47, v19, s3
	v_add_co_u32 v20, s3, v20, s50
	s_wait_alu 0xf1ff
	v_add_co_ci_u32_e64 v21, null, s51, v21, s3
	s_wait_alu 0xfffe
	s_or_b32 s5, vcc_lo, s5
	s_wait_alu 0xfffe
	s_and_not1_b32 exec_lo, exec_lo, s5
	s_cbranch_execnz .LBB5_77
	s_branch .LBB5_8
.LBB5_78:
	s_endpgm
	.section	.rodata,"a",@progbits
	.p2align	6, 0x0
	.amdhsa_kernel _ZN2at6native12_GLOBAL__N_121max_pool_forward_nhwcIflEEvPKT_iT0_S6_S6_S6_S6_iiiiiiiiS6_S6_S6_S6_iiPS3_Pl
		.amdhsa_group_segment_fixed_size 0
		.amdhsa_private_segment_fixed_size 0
		.amdhsa_kernarg_size 400
		.amdhsa_user_sgpr_count 2
		.amdhsa_user_sgpr_dispatch_ptr 0
		.amdhsa_user_sgpr_queue_ptr 0
		.amdhsa_user_sgpr_kernarg_segment_ptr 1
		.amdhsa_user_sgpr_dispatch_id 0
		.amdhsa_user_sgpr_private_segment_size 0
		.amdhsa_wavefront_size32 1
		.amdhsa_uses_dynamic_stack 0
		.amdhsa_enable_private_segment 0
		.amdhsa_system_sgpr_workgroup_id_x 1
		.amdhsa_system_sgpr_workgroup_id_y 1
		.amdhsa_system_sgpr_workgroup_id_z 1
		.amdhsa_system_sgpr_workgroup_info 0
		.amdhsa_system_vgpr_workitem_id 2
		.amdhsa_next_free_vgpr 62
		.amdhsa_next_free_sgpr 72
		.amdhsa_reserve_vcc 1
		.amdhsa_float_round_mode_32 0
		.amdhsa_float_round_mode_16_64 0
		.amdhsa_float_denorm_mode_32 3
		.amdhsa_float_denorm_mode_16_64 3
		.amdhsa_fp16_overflow 0
		.amdhsa_workgroup_processor_mode 1
		.amdhsa_memory_ordered 1
		.amdhsa_forward_progress 1
		.amdhsa_inst_pref_size 46
		.amdhsa_round_robin_scheduling 0
		.amdhsa_exception_fp_ieee_invalid_op 0
		.amdhsa_exception_fp_denorm_src 0
		.amdhsa_exception_fp_ieee_div_zero 0
		.amdhsa_exception_fp_ieee_overflow 0
		.amdhsa_exception_fp_ieee_underflow 0
		.amdhsa_exception_fp_ieee_inexact 0
		.amdhsa_exception_int_div_zero 0
	.end_amdhsa_kernel
	.section	.text._ZN2at6native12_GLOBAL__N_121max_pool_forward_nhwcIflEEvPKT_iT0_S6_S6_S6_S6_iiiiiiiiS6_S6_S6_S6_iiPS3_Pl,"axG",@progbits,_ZN2at6native12_GLOBAL__N_121max_pool_forward_nhwcIflEEvPKT_iT0_S6_S6_S6_S6_iiiiiiiiS6_S6_S6_S6_iiPS3_Pl,comdat
.Lfunc_end5:
	.size	_ZN2at6native12_GLOBAL__N_121max_pool_forward_nhwcIflEEvPKT_iT0_S6_S6_S6_S6_iiiiiiiiS6_S6_S6_S6_iiPS3_Pl, .Lfunc_end5-_ZN2at6native12_GLOBAL__N_121max_pool_forward_nhwcIflEEvPKT_iT0_S6_S6_S6_S6_iiiiiiiiS6_S6_S6_S6_iiPS3_Pl
                                        ; -- End function
	.set _ZN2at6native12_GLOBAL__N_121max_pool_forward_nhwcIflEEvPKT_iT0_S6_S6_S6_S6_iiiiiiiiS6_S6_S6_S6_iiPS3_Pl.num_vgpr, 62
	.set _ZN2at6native12_GLOBAL__N_121max_pool_forward_nhwcIflEEvPKT_iT0_S6_S6_S6_S6_iiiiiiiiS6_S6_S6_S6_iiPS3_Pl.num_agpr, 0
	.set _ZN2at6native12_GLOBAL__N_121max_pool_forward_nhwcIflEEvPKT_iT0_S6_S6_S6_S6_iiiiiiiiS6_S6_S6_S6_iiPS3_Pl.numbered_sgpr, 72
	.set _ZN2at6native12_GLOBAL__N_121max_pool_forward_nhwcIflEEvPKT_iT0_S6_S6_S6_S6_iiiiiiiiS6_S6_S6_S6_iiPS3_Pl.num_named_barrier, 0
	.set _ZN2at6native12_GLOBAL__N_121max_pool_forward_nhwcIflEEvPKT_iT0_S6_S6_S6_S6_iiiiiiiiS6_S6_S6_S6_iiPS3_Pl.private_seg_size, 0
	.set _ZN2at6native12_GLOBAL__N_121max_pool_forward_nhwcIflEEvPKT_iT0_S6_S6_S6_S6_iiiiiiiiS6_S6_S6_S6_iiPS3_Pl.uses_vcc, 1
	.set _ZN2at6native12_GLOBAL__N_121max_pool_forward_nhwcIflEEvPKT_iT0_S6_S6_S6_S6_iiiiiiiiS6_S6_S6_S6_iiPS3_Pl.uses_flat_scratch, 0
	.set _ZN2at6native12_GLOBAL__N_121max_pool_forward_nhwcIflEEvPKT_iT0_S6_S6_S6_S6_iiiiiiiiS6_S6_S6_S6_iiPS3_Pl.has_dyn_sized_stack, 0
	.set _ZN2at6native12_GLOBAL__N_121max_pool_forward_nhwcIflEEvPKT_iT0_S6_S6_S6_S6_iiiiiiiiS6_S6_S6_S6_iiPS3_Pl.has_recursion, 0
	.set _ZN2at6native12_GLOBAL__N_121max_pool_forward_nhwcIflEEvPKT_iT0_S6_S6_S6_S6_iiiiiiiiS6_S6_S6_S6_iiPS3_Pl.has_indirect_call, 0
	.section	.AMDGPU.csdata,"",@progbits
; Kernel info:
; codeLenInByte = 5832
; TotalNumSgprs: 74
; NumVgprs: 62
; ScratchSize: 0
; MemoryBound: 0
; FloatMode: 240
; IeeeMode: 1
; LDSByteSize: 0 bytes/workgroup (compile time only)
; SGPRBlocks: 0
; VGPRBlocks: 7
; NumSGPRsForWavesPerEU: 74
; NumVGPRsForWavesPerEU: 62
; Occupancy: 16
; WaveLimiterHint : 1
; COMPUTE_PGM_RSRC2:SCRATCH_EN: 0
; COMPUTE_PGM_RSRC2:USER_SGPR: 2
; COMPUTE_PGM_RSRC2:TRAP_HANDLER: 0
; COMPUTE_PGM_RSRC2:TGID_X_EN: 1
; COMPUTE_PGM_RSRC2:TGID_Y_EN: 1
; COMPUTE_PGM_RSRC2:TGID_Z_EN: 1
; COMPUTE_PGM_RSRC2:TIDIG_COMP_CNT: 2
	.section	.text._ZN2at6native12_GLOBAL__N_121max_pool_forward_nchwIfiEEvT0_PKT_llliiiiiiiiiiPS4_Pl,"axG",@progbits,_ZN2at6native12_GLOBAL__N_121max_pool_forward_nchwIfiEEvT0_PKT_llliiiiiiiiiiPS4_Pl,comdat
	.globl	_ZN2at6native12_GLOBAL__N_121max_pool_forward_nchwIfiEEvT0_PKT_llliiiiiiiiiiPS4_Pl ; -- Begin function _ZN2at6native12_GLOBAL__N_121max_pool_forward_nchwIfiEEvT0_PKT_llliiiiiiiiiiPS4_Pl
	.p2align	8
	.type	_ZN2at6native12_GLOBAL__N_121max_pool_forward_nchwIfiEEvT0_PKT_llliiiiiiiiiiPS4_Pl,@function
_ZN2at6native12_GLOBAL__N_121max_pool_forward_nchwIfiEEvT0_PKT_llliiiiiiiiiiPS4_Pl: ; @_ZN2at6native12_GLOBAL__N_121max_pool_forward_nchwIfiEEvT0_PKT_llliiiiiiiiiiPS4_Pl
; %bb.0:
	s_clause 0x1
	s_load_b32 s2, s[0:1], 0x6c
	s_load_b32 s20, s[0:1], 0x0
	v_mov_b32_e32 v1, 0
	s_mov_b32 s3, exec_lo
	s_wait_kmcnt 0x0
	s_and_b32 s2, s2, 0xffff
	s_ashr_i32 s21, s20, 31
	v_mad_co_u64_u32 v[0:1], null, s2, ttmp9, v[0:1]
	s_delay_alu instid0(VALU_DEP_1)
	v_cmpx_gt_i64_e64 s[20:21], v[0:1]
	s_cbranch_execz .LBB6_11
; %bb.1:
	s_clause 0x1
	s_load_b256 s[4:11], s[0:1], 0x28
	s_load_b64 s[22:23], s[0:1], 0x48
	s_add_nc_u64 s[26:27], s[0:1], 0x60
	s_clause 0x2
	s_load_b64 s[24:25], s[0:1], 0x8
	s_load_b128 s[12:15], s[0:1], 0x18
	s_load_b128 s[16:19], s[0:1], 0x50
	s_load_b32 s0, s[26:27], 0x0
	s_mov_b32 s3, 0
	s_wait_kmcnt 0x0
	s_add_co_i32 s1, s6, -1
	s_add_co_i32 s6, s7, -1
	s_abs_i32 s34, s5
	s_abs_i32 s36, s4
	s_max_u32 s30, s22, 1
	s_wait_alu 0xfffe
	s_mul_i32 s38, s22, s1
	s_mul_i32 s39, s23, s6
	s_cvt_f32_u32 s1, s34
	s_cvt_f32_u32 s6, s36
	s_max_u32 s31, s23, 1
	s_cvt_f32_u32 s7, s30
	s_cvt_f32_u32 s26, s31
	s_wait_alu 0xfffe
	v_rcp_iflag_f32_e32 v2, s1
	v_rcp_iflag_f32_e32 v3, s6
	v_rcp_iflag_f32_e32 v4, s7
	v_rcp_iflag_f32_e32 v5, s26
	s_mul_i32 s37, s0, s2
	s_sub_co_i32 s0, 0, s34
	s_sub_co_i32 s1, 0, s36
	;; [unrolled: 1-line block ×4, first 2 shown]
	s_ashr_i32 s29, s23, 31
	v_readfirstlane_b32 s7, v2
	v_readfirstlane_b32 s26, v3
	;; [unrolled: 1-line block ×4, first 2 shown]
	s_ashr_i32 s33, s5, 31
	s_mul_f32 s7, s7, 0x4f7ffffe
	s_mul_f32 s26, s26, 0x4f7ffffe
	;; [unrolled: 1-line block ×4, first 2 shown]
	s_wait_alu 0xfffe
	s_cvt_u32_f32 s7, s7
	s_cvt_u32_f32 s26, s26
	;; [unrolled: 1-line block ×4, first 2 shown]
	s_wait_alu 0xfffe
	s_mul_i32 s0, s0, s7
	s_mul_i32 s1, s1, s26
	;; [unrolled: 1-line block ×3, first 2 shown]
	s_wait_alu 0xfffe
	s_mul_hi_u32 s0, s7, s0
	s_mul_hi_u32 s1, s26, s1
	s_mul_i32 s6, s6, s28
	s_mul_hi_u32 s2, s27, s2
	s_wait_alu 0xfffe
	s_add_co_i32 s40, s7, s0
	s_add_co_i32 s41, s26, s1
	s_mul_u64 s[0:1], s[14:15], s[12:13]
	s_add_co_i32 s42, s27, s2
	s_mul_hi_u32 s2, s28, s6
	s_wait_alu 0xfffe
	s_lshl_b64 s[6:7], s[0:1], 2
	s_ashr_i32 s1, s22, 31
	s_mov_b32 s0, s22
	s_add_co_i32 s13, s28, s2
	s_wait_alu 0xfffe
	s_mul_u64 s[0:1], s[14:15], s[0:1]
	s_mov_b32 s28, s23
	s_ashr_i32 s35, s4, 31
	s_add_co_i32 s38, s38, 1
	s_add_co_i32 s39, s39, 1
	s_sub_co_i32 s43, 0, s11
	s_wait_alu 0xfffe
	s_lshl_b64 s[26:27], s[0:1], 2
	s_lshl_b64 s[28:29], s[28:29], 2
	s_mul_i32 s44, s22, s14
	s_branch .LBB6_4
.LBB6_2:                                ;   in Loop: Header=BB6_4 Depth=1
	s_or_b32 exec_lo, exec_lo, s46
.LBB6_3:                                ;   in Loop: Header=BB6_4 Depth=1
	s_wait_alu 0xfffe
	s_or_b32 exec_lo, exec_lo, s45
	v_lshlrev_b64_e32 v[3:4], 2, v[0:1]
	v_lshlrev_b64_e32 v[5:6], 3, v[0:1]
	v_add_co_u32 v0, vcc_lo, v0, s37
	s_wait_alu 0xfffd
	v_add_co_ci_u32_e64 v1, null, 0, v1, vcc_lo
	s_delay_alu instid0(VALU_DEP_4) | instskip(SKIP_2) | instid1(VALU_DEP_3)
	v_add_co_u32 v7, vcc_lo, s16, v3
	s_wait_alu 0xfffd
	v_add_co_ci_u32_e64 v8, null, s17, v4, vcc_lo
	v_cmp_le_i64_e32 vcc_lo, s[20:21], v[0:1]
	v_add_co_u32 v4, s0, s18, v5
	v_ashrrev_i32_e32 v3, 31, v2
	s_wait_alu 0xf1ff
	v_add_co_ci_u32_e64 v5, null, s19, v6, s0
	s_or_b32 s3, vcc_lo, s3
	global_store_b32 v[7:8], v10, off
	global_store_b64 v[4:5], v[2:3], off
	s_wait_alu 0xfffe
	s_and_not1_b32 exec_lo, exec_lo, s3
	s_cbranch_execz .LBB6_11
.LBB6_4:                                ; =>This Loop Header: Depth=1
                                        ;     Child Loop BB6_7 Depth 2
                                        ;       Child Loop BB6_9 Depth 3
	v_sub_nc_u32_e32 v2, 0, v0
	s_mov_b32 s45, exec_lo
	s_delay_alu instid0(VALU_DEP_1) | instskip(NEXT) | instid1(VALU_DEP_1)
	v_max_i32_e32 v2, v0, v2
	v_mul_hi_u32 v3, v2, s40
	s_delay_alu instid0(VALU_DEP_1) | instskip(NEXT) | instid1(VALU_DEP_1)
	v_mul_lo_u32 v4, v3, s34
	v_sub_nc_u32_e32 v2, v2, v4
	v_add_nc_u32_e32 v4, 1, v3
	s_delay_alu instid0(VALU_DEP_2) | instskip(SKIP_2) | instid1(VALU_DEP_2)
	v_subrev_nc_u32_e32 v5, s34, v2
	v_cmp_le_u32_e32 vcc_lo, s34, v2
	s_wait_alu 0xfffd
	v_dual_cndmask_b32 v3, v3, v4 :: v_dual_cndmask_b32 v2, v2, v5
	v_ashrrev_i32_e32 v4, 31, v0
	s_delay_alu instid0(VALU_DEP_2) | instskip(NEXT) | instid1(VALU_DEP_3)
	v_add_nc_u32_e32 v5, 1, v3
	v_cmp_le_u32_e32 vcc_lo, s34, v2
	s_delay_alu instid0(VALU_DEP_3) | instskip(SKIP_1) | instid1(VALU_DEP_3)
	v_xor_b32_e32 v4, s33, v4
	s_wait_alu 0xfffd
	v_cndmask_b32_e32 v2, v3, v5, vcc_lo
	s_delay_alu instid0(VALU_DEP_1) | instskip(NEXT) | instid1(VALU_DEP_1)
	v_xor_b32_e32 v2, v2, v4
	v_sub_nc_u32_e32 v2, v2, v4
	s_delay_alu instid0(VALU_DEP_1) | instskip(NEXT) | instid1(VALU_DEP_1)
	v_sub_nc_u32_e32 v3, 0, v2
	v_max_i32_e32 v3, v2, v3
	s_delay_alu instid0(VALU_DEP_1) | instskip(NEXT) | instid1(VALU_DEP_1)
	v_mul_hi_u32 v4, v3, s41
	v_mul_lo_u32 v5, v4, s36
	s_delay_alu instid0(VALU_DEP_1) | instskip(SKIP_1) | instid1(VALU_DEP_2)
	v_sub_nc_u32_e32 v3, v3, v5
	v_add_nc_u32_e32 v5, 1, v4
	v_subrev_nc_u32_e32 v6, s36, v3
	v_cmp_le_u32_e32 vcc_lo, s36, v3
	s_wait_alu 0xfffd
	s_delay_alu instid0(VALU_DEP_2) | instskip(SKIP_1) | instid1(VALU_DEP_2)
	v_dual_cndmask_b32 v4, v4, v5 :: v_dual_cndmask_b32 v3, v3, v6
	v_ashrrev_i32_e32 v5, 31, v2
	v_add_nc_u32_e32 v6, 1, v4
	s_delay_alu instid0(VALU_DEP_3) | instskip(NEXT) | instid1(VALU_DEP_3)
	v_cmp_le_u32_e32 vcc_lo, s36, v3
	v_xor_b32_e32 v5, s35, v5
	s_wait_alu 0xfffd
	s_delay_alu instid0(VALU_DEP_3) | instskip(SKIP_1) | instid1(VALU_DEP_2)
	v_cndmask_b32_e32 v3, v4, v6, vcc_lo
	v_mul_lo_u32 v4, v2, s5
	v_xor_b32_e32 v3, v3, v5
	s_delay_alu instid0(VALU_DEP_1) | instskip(NEXT) | instid1(VALU_DEP_1)
	v_sub_nc_u32_e32 v5, v3, v5
	v_mul_lo_u32 v3, v5, s4
	s_delay_alu instid0(VALU_DEP_1) | instskip(SKIP_1) | instid1(VALU_DEP_2)
	v_sub_nc_u32_e32 v2, v2, v3
	v_sub_nc_u32_e32 v3, v0, v4
	v_mul_lo_u32 v4, v2, s8
	s_delay_alu instid0(VALU_DEP_2) | instskip(NEXT) | instid1(VALU_DEP_2)
	v_mul_lo_u32 v7, v3, s9
	v_subrev_nc_u32_e32 v2, s10, v4
	s_delay_alu instid0(VALU_DEP_2) | instskip(NEXT) | instid1(VALU_DEP_2)
	v_subrev_nc_u32_e32 v6, s11, v7
	v_max_i32_e32 v3, 0, v2
	s_delay_alu instid0(VALU_DEP_2) | instskip(NEXT) | instid1(VALU_DEP_2)
	v_max_i32_e32 v8, 0, v6
	v_add_nc_u32_e32 v3, s10, v3
	s_delay_alu instid0(VALU_DEP_2) | instskip(NEXT) | instid1(VALU_DEP_2)
	v_add_nc_u32_e32 v8, s11, v8
	v_cmp_ne_u32_e32 vcc_lo, v3, v4
	s_delay_alu instid0(VALU_DEP_2) | instskip(SKIP_3) | instid1(VALU_DEP_2)
	v_cmp_ne_u32_e64 s0, v8, v7
	s_wait_alu 0xfffd
	v_cndmask_b32_e64 v9, 0, 1, vcc_lo
	s_wait_alu 0xf1ff
	v_cndmask_b32_e64 v10, 0, 1, s0
	s_delay_alu instid0(VALU_DEP_2) | instskip(NEXT) | instid1(VALU_DEP_2)
	v_add_nc_u32_e32 v4, v4, v9
	v_add_nc_u32_e32 v9, v7, v10
	s_delay_alu instid0(VALU_DEP_2) | instskip(NEXT) | instid1(VALU_DEP_2)
	v_sub_nc_u32_e32 v3, v3, v4
	v_sub_nc_u32_e32 v4, v8, v9
	s_delay_alu instid0(VALU_DEP_2) | instskip(NEXT) | instid1(VALU_DEP_2)
	v_mul_hi_u32 v8, v3, s42
	v_mul_hi_u32 v9, v4, s13
	s_delay_alu instid0(VALU_DEP_2) | instskip(NEXT) | instid1(VALU_DEP_2)
	v_mul_lo_u32 v10, v8, s30
	v_mul_lo_u32 v11, v9, s31
	s_delay_alu instid0(VALU_DEP_2) | instskip(SKIP_1) | instid1(VALU_DEP_3)
	v_sub_nc_u32_e32 v3, v3, v10
	v_add_nc_u32_e32 v10, 1, v8
	v_sub_nc_u32_e32 v4, v4, v11
	v_add_nc_u32_e32 v11, 1, v9
	s_delay_alu instid0(VALU_DEP_4) | instskip(SKIP_1) | instid1(VALU_DEP_4)
	v_subrev_nc_u32_e32 v12, s30, v3
	v_cmp_le_u32_e64 s1, s30, v3
	v_cmp_le_u32_e64 s2, s31, v4
	s_wait_alu 0xf1ff
	s_delay_alu instid0(VALU_DEP_2) | instskip(SKIP_3) | instid1(VALU_DEP_4)
	v_cndmask_b32_e64 v8, v8, v10, s1
	v_subrev_nc_u32_e32 v10, s31, v4
	v_cndmask_b32_e64 v3, v3, v12, s1
	v_cndmask_b32_e64 v9, v9, v11, s2
	v_add_nc_u32_e32 v11, 1, v8
	s_delay_alu instid0(VALU_DEP_4) | instskip(NEXT) | instid1(VALU_DEP_4)
	v_cndmask_b32_e64 v4, v4, v10, s2
	v_cmp_le_u32_e64 s1, s30, v3
	s_delay_alu instid0(VALU_DEP_4) | instskip(SKIP_1) | instid1(VALU_DEP_2)
	v_add_nc_u32_e32 v10, 1, v9
	s_wait_alu 0xf1ff
	v_cndmask_b32_e64 v3, v8, v11, s1
	v_cmp_le_u32_e64 s1, s31, v4
	s_delay_alu instid0(VALU_DEP_2) | instskip(SKIP_1) | instid1(VALU_DEP_2)
	v_add_co_ci_u32_e64 v3, null, 0, v3, vcc_lo
	s_wait_alu 0xf1ff
	v_cndmask_b32_e64 v4, v9, v10, s1
	v_mov_b32_e32 v10, 0xff800000
	s_delay_alu instid0(VALU_DEP_2) | instskip(SKIP_2) | instid1(VALU_DEP_3)
	v_add_co_ci_u32_e64 v8, null, 0, v4, s0
	v_mad_co_u64_u32 v[3:4], null, s22, v3, v[2:3]
	v_add_nc_u32_e32 v2, s38, v2
	v_mul_lo_u32 v4, s23, v8
	s_delay_alu instid0(VALU_DEP_2) | instskip(NEXT) | instid1(VALU_DEP_4)
	v_min_i32_e32 v9, s12, v2
	v_mul_lo_u32 v8, v3, s14
	s_delay_alu instid0(VALU_DEP_3) | instskip(NEXT) | instid1(VALU_DEP_1)
	v_add_nc_u32_e32 v11, v6, v4
	v_add_nc_u32_e32 v2, v11, v8
	s_delay_alu instid0(VALU_DEP_4)
	v_cmpx_lt_i32_e64 v3, v9
	s_cbranch_execz .LBB6_3
; %bb.5:                                ;   in Loop: Header=BB6_4 Depth=1
	v_add3_u32 v12, s43, v4, v7
	v_ashrrev_i32_e32 v4, 31, v3
	v_mul_lo_u32 v7, s15, v3
	v_add_nc_u32_e32 v6, s39, v6
	s_mov_b32 s46, 0
	v_ashrrev_i32_e32 v13, 31, v12
	v_mul_lo_u32 v4, s14, v4
	s_delay_alu instid0(VALU_DEP_2) | instskip(NEXT) | instid1(VALU_DEP_1)
	v_mad_co_u64_u32 v[12:13], null, s14, v3, v[12:13]
	v_add3_u32 v13, v7, v13, v4
	v_ashrrev_i32_e32 v4, 31, v5
	v_mul_lo_u32 v7, s7, v5
	s_delay_alu instid0(VALU_DEP_3) | instskip(NEXT) | instid1(VALU_DEP_3)
	v_lshlrev_b64_e32 v[12:13], 2, v[12:13]
	v_mul_lo_u32 v10, s6, v4
	s_delay_alu instid0(VALU_DEP_2) | instskip(SKIP_1) | instid1(VALU_DEP_1)
	v_mad_co_u64_u32 v[4:5], null, s6, v5, v[12:13]
	v_min_i32_e32 v12, s14, v6
	v_cmp_lt_i32_e32 vcc_lo, v11, v12
	s_delay_alu instid0(VALU_DEP_3) | instskip(NEXT) | instid1(VALU_DEP_4)
	v_add3_u32 v5, v7, v5, v10
	v_add_co_u32 v4, s0, s24, v4
	v_mov_b32_e32 v10, 0xff800000
	s_wait_alu 0xf1ff
	s_delay_alu instid0(VALU_DEP_3)
	v_add_co_ci_u32_e64 v5, null, s25, v5, s0
	s_branch .LBB6_7
.LBB6_6:                                ;   in Loop: Header=BB6_7 Depth=2
	s_or_b32 exec_lo, exec_lo, s47
	v_add_nc_u32_e32 v3, s22, v3
	s_wait_alu 0xfffe
	v_add_co_u32 v4, s1, v4, s26
	s_wait_alu 0xf1ff
	v_add_co_ci_u32_e64 v5, null, s27, v5, s1
	v_cmp_ge_i32_e64 s0, v3, v9
	v_add_nc_u32_e32 v8, s44, v8
	s_or_b32 s46, s0, s46
	s_delay_alu instid0(SALU_CYCLE_1)
	s_and_not1_b32 exec_lo, exec_lo, s46
	s_cbranch_execz .LBB6_2
.LBB6_7:                                ;   Parent Loop BB6_4 Depth=1
                                        ; =>  This Loop Header: Depth=2
                                        ;       Child Loop BB6_9 Depth 3
	s_and_saveexec_b32 s47, vcc_lo
	s_cbranch_execz .LBB6_6
; %bb.8:                                ;   in Loop: Header=BB6_7 Depth=2
	s_delay_alu instid0(VALU_DEP_1)
	v_dual_mov_b32 v7, v5 :: v_dual_mov_b32 v6, v4
	v_mov_b32_e32 v13, v11
	s_mov_b32 s48, 0
.LBB6_9:                                ;   Parent Loop BB6_4 Depth=1
                                        ;     Parent Loop BB6_7 Depth=2
                                        ; =>    This Inner Loop Header: Depth=3
	global_load_b32 v14, v[6:7], off
	v_add_nc_u32_e32 v15, v8, v13
	v_add_nc_u32_e32 v13, s23, v13
	v_add_co_u32 v6, s2, v6, s28
	s_wait_alu 0xf1ff
	v_add_co_ci_u32_e64 v7, null, s29, v7, s2
	s_delay_alu instid0(VALU_DEP_3)
	v_cmp_ge_i32_e64 s2, v13, v12
	s_wait_loadcnt 0x0
	v_cmp_gt_f32_e64 s0, v14, v10
	v_cmp_u_f32_e64 s1, v14, v14
	s_or_b32 s0, s0, s1
	s_or_b32 s48, s2, s48
	s_wait_alu 0xfffe
	v_cndmask_b32_e64 v10, v10, v14, s0
	v_cndmask_b32_e64 v2, v2, v15, s0
	s_and_not1_b32 exec_lo, exec_lo, s48
	s_cbranch_execnz .LBB6_9
; %bb.10:                               ;   in Loop: Header=BB6_7 Depth=2
	s_or_b32 exec_lo, exec_lo, s48
	s_branch .LBB6_6
.LBB6_11:
	s_endpgm
	.section	.rodata,"a",@progbits
	.p2align	6, 0x0
	.amdhsa_kernel _ZN2at6native12_GLOBAL__N_121max_pool_forward_nchwIfiEEvT0_PKT_llliiiiiiiiiiPS4_Pl
		.amdhsa_group_segment_fixed_size 0
		.amdhsa_private_segment_fixed_size 0
		.amdhsa_kernarg_size 352
		.amdhsa_user_sgpr_count 2
		.amdhsa_user_sgpr_dispatch_ptr 0
		.amdhsa_user_sgpr_queue_ptr 0
		.amdhsa_user_sgpr_kernarg_segment_ptr 1
		.amdhsa_user_sgpr_dispatch_id 0
		.amdhsa_user_sgpr_private_segment_size 0
		.amdhsa_wavefront_size32 1
		.amdhsa_uses_dynamic_stack 0
		.amdhsa_enable_private_segment 0
		.amdhsa_system_sgpr_workgroup_id_x 1
		.amdhsa_system_sgpr_workgroup_id_y 0
		.amdhsa_system_sgpr_workgroup_id_z 0
		.amdhsa_system_sgpr_workgroup_info 0
		.amdhsa_system_vgpr_workitem_id 0
		.amdhsa_next_free_vgpr 16
		.amdhsa_next_free_sgpr 49
		.amdhsa_reserve_vcc 1
		.amdhsa_float_round_mode_32 0
		.amdhsa_float_round_mode_16_64 0
		.amdhsa_float_denorm_mode_32 3
		.amdhsa_float_denorm_mode_16_64 3
		.amdhsa_fp16_overflow 0
		.amdhsa_workgroup_processor_mode 1
		.amdhsa_memory_ordered 1
		.amdhsa_forward_progress 1
		.amdhsa_inst_pref_size 13
		.amdhsa_round_robin_scheduling 0
		.amdhsa_exception_fp_ieee_invalid_op 0
		.amdhsa_exception_fp_denorm_src 0
		.amdhsa_exception_fp_ieee_div_zero 0
		.amdhsa_exception_fp_ieee_overflow 0
		.amdhsa_exception_fp_ieee_underflow 0
		.amdhsa_exception_fp_ieee_inexact 0
		.amdhsa_exception_int_div_zero 0
	.end_amdhsa_kernel
	.section	.text._ZN2at6native12_GLOBAL__N_121max_pool_forward_nchwIfiEEvT0_PKT_llliiiiiiiiiiPS4_Pl,"axG",@progbits,_ZN2at6native12_GLOBAL__N_121max_pool_forward_nchwIfiEEvT0_PKT_llliiiiiiiiiiPS4_Pl,comdat
.Lfunc_end6:
	.size	_ZN2at6native12_GLOBAL__N_121max_pool_forward_nchwIfiEEvT0_PKT_llliiiiiiiiiiPS4_Pl, .Lfunc_end6-_ZN2at6native12_GLOBAL__N_121max_pool_forward_nchwIfiEEvT0_PKT_llliiiiiiiiiiPS4_Pl
                                        ; -- End function
	.set _ZN2at6native12_GLOBAL__N_121max_pool_forward_nchwIfiEEvT0_PKT_llliiiiiiiiiiPS4_Pl.num_vgpr, 16
	.set _ZN2at6native12_GLOBAL__N_121max_pool_forward_nchwIfiEEvT0_PKT_llliiiiiiiiiiPS4_Pl.num_agpr, 0
	.set _ZN2at6native12_GLOBAL__N_121max_pool_forward_nchwIfiEEvT0_PKT_llliiiiiiiiiiPS4_Pl.numbered_sgpr, 49
	.set _ZN2at6native12_GLOBAL__N_121max_pool_forward_nchwIfiEEvT0_PKT_llliiiiiiiiiiPS4_Pl.num_named_barrier, 0
	.set _ZN2at6native12_GLOBAL__N_121max_pool_forward_nchwIfiEEvT0_PKT_llliiiiiiiiiiPS4_Pl.private_seg_size, 0
	.set _ZN2at6native12_GLOBAL__N_121max_pool_forward_nchwIfiEEvT0_PKT_llliiiiiiiiiiPS4_Pl.uses_vcc, 1
	.set _ZN2at6native12_GLOBAL__N_121max_pool_forward_nchwIfiEEvT0_PKT_llliiiiiiiiiiPS4_Pl.uses_flat_scratch, 0
	.set _ZN2at6native12_GLOBAL__N_121max_pool_forward_nchwIfiEEvT0_PKT_llliiiiiiiiiiPS4_Pl.has_dyn_sized_stack, 0
	.set _ZN2at6native12_GLOBAL__N_121max_pool_forward_nchwIfiEEvT0_PKT_llliiiiiiiiiiPS4_Pl.has_recursion, 0
	.set _ZN2at6native12_GLOBAL__N_121max_pool_forward_nchwIfiEEvT0_PKT_llliiiiiiiiiiPS4_Pl.has_indirect_call, 0
	.section	.AMDGPU.csdata,"",@progbits
; Kernel info:
; codeLenInByte = 1584
; TotalNumSgprs: 51
; NumVgprs: 16
; ScratchSize: 0
; MemoryBound: 0
; FloatMode: 240
; IeeeMode: 1
; LDSByteSize: 0 bytes/workgroup (compile time only)
; SGPRBlocks: 0
; VGPRBlocks: 1
; NumSGPRsForWavesPerEU: 51
; NumVGPRsForWavesPerEU: 16
; Occupancy: 16
; WaveLimiterHint : 0
; COMPUTE_PGM_RSRC2:SCRATCH_EN: 0
; COMPUTE_PGM_RSRC2:USER_SGPR: 2
; COMPUTE_PGM_RSRC2:TRAP_HANDLER: 0
; COMPUTE_PGM_RSRC2:TGID_X_EN: 1
; COMPUTE_PGM_RSRC2:TGID_Y_EN: 0
; COMPUTE_PGM_RSRC2:TGID_Z_EN: 0
; COMPUTE_PGM_RSRC2:TIDIG_COMP_CNT: 0
	.section	.text._ZN2at6native12_GLOBAL__N_121max_pool_forward_nchwIflEEvT0_PKT_llliiiiiiiiiiPS4_Pl,"axG",@progbits,_ZN2at6native12_GLOBAL__N_121max_pool_forward_nchwIflEEvT0_PKT_llliiiiiiiiiiPS4_Pl,comdat
	.globl	_ZN2at6native12_GLOBAL__N_121max_pool_forward_nchwIflEEvT0_PKT_llliiiiiiiiiiPS4_Pl ; -- Begin function _ZN2at6native12_GLOBAL__N_121max_pool_forward_nchwIflEEvT0_PKT_llliiiiiiiiiiPS4_Pl
	.p2align	8
	.type	_ZN2at6native12_GLOBAL__N_121max_pool_forward_nchwIflEEvT0_PKT_llliiiiiiiiiiPS4_Pl,@function
_ZN2at6native12_GLOBAL__N_121max_pool_forward_nchwIflEEvT0_PKT_llliiiiiiiiiiPS4_Pl: ; @_ZN2at6native12_GLOBAL__N_121max_pool_forward_nchwIflEEvT0_PKT_llliiiiiiiiiiPS4_Pl
; %bb.0:
	s_clause 0x1
	s_load_b32 s2, s[0:1], 0x6c
	s_load_b128 s[12:15], s[0:1], 0x0
	v_mov_b32_e32 v2, 0
	s_mov_b32 s3, exec_lo
	s_delay_alu instid0(VALU_DEP_1)
	v_mov_b32_e32 v1, v2
	s_wait_kmcnt 0x0
	s_and_b32 s2, s2, 0xffff
	s_delay_alu instid0(VALU_DEP_1) | instid1(SALU_CYCLE_1)
	v_mad_co_u64_u32 v[0:1], null, s2, ttmp9, v[0:1]
	s_delay_alu instid0(VALU_DEP_1)
	v_cmpx_gt_i64_e64 s[12:13], v[0:1]
	s_cbranch_execz .LBB7_27
; %bb.1:
	s_clause 0x1
	s_load_b256 s[4:11], s[0:1], 0x28
	s_load_b64 s[24:25], s[0:1], 0x48
	s_add_nc_u64 s[26:27], s[0:1], 0x60
	s_clause 0x1
	s_load_b128 s[16:19], s[0:1], 0x18
	s_load_b128 s[20:23], s[0:1], 0x50
	s_load_b32 s0, s[26:27], 0x0
	s_wait_kmcnt 0x0
	s_mov_b32 s26, s5
	v_cvt_f32_u32_e32 v4, s4
	v_cvt_f32_u32_e32 v3, s26
	s_add_co_i32 s1, s6, -1
	s_add_co_i32 s3, s7, -1
	s_ashr_i32 s7, s24, 31
	v_rcp_iflag_f32_e32 v4, v4
	v_rcp_iflag_f32_e32 v3, v3
	s_mov_b32 s6, s24
	s_ashr_i32 s33, s8, 31
	s_mov_b32 s42, s8
	s_ashr_i32 s45, s9, 31
	;; [unrolled: 2-line block ×3, first 2 shown]
	s_mov_b32 s8, s25
	s_wait_alu 0xfffe
	s_mul_i32 s49, s24, s1
	v_cmp_gt_u64_e64 s1, s[6:7], 1
	v_cmp_gt_u64_e64 s28, s[8:9], 1
	v_dual_mul_f32 v3, 0x4f7ffffe, v3 :: v_dual_mul_f32 v4, 0x4f7ffffe, v4
	s_mul_i32 s50, s25, s3
	s_ashr_i32 s27, s5, 31
	s_ashr_i32 s5, s4, 31
	;; [unrolled: 1-line block ×4, first 2 shown]
	s_add_co_i32 s49, s49, 1
	s_add_co_i32 s50, s50, 1
	s_mul_i32 s51, s0, s2
	s_and_b32 s0, s1, exec_lo
	s_mov_b32 s44, s10
	s_mov_b32 s48, s11
	s_cselect_b32 s11, s7, 0
	s_cselect_b32 s10, s24, 1
	s_and_b32 s0, s28, exec_lo
	v_cvt_u32_f32_e32 v15, v3
	v_cvt_u32_f32_e32 v16, v4
	s_mul_u64 s[0:1], s[18:19], s[16:17]
	s_mov_b32 s3, 0
	s_cselect_b32 s29, s9, 0
	s_cselect_b32 s28, s25, 1
	s_wait_alu 0xfffe
	s_lshl_b64 s[30:31], s[0:1], 2
	s_lshl_b64 s[34:35], s[8:9], 2
	s_ashr_i32 s36, s27, 31
	s_mov_b32 s17, 0
	s_branch .LBB7_4
.LBB7_2:                                ;   in Loop: Header=BB7_4 Depth=1
	s_or_b32 exec_lo, exec_lo, s38
.LBB7_3:                                ;   in Loop: Header=BB7_4 Depth=1
	s_wait_alu 0xfffe
	s_or_b32 exec_lo, exec_lo, s37
	v_lshlrev_b64_e32 v[3:4], 2, v[0:1]
	v_lshlrev_b64_e32 v[5:6], 3, v[0:1]
	v_add_co_u32 v0, vcc_lo, v0, s51
	s_wait_alu 0xfffd
	v_add_co_ci_u32_e64 v1, null, 0, v1, vcc_lo
	s_delay_alu instid0(VALU_DEP_4) | instskip(SKIP_2) | instid1(VALU_DEP_3)
	v_add_co_u32 v3, vcc_lo, s20, v3
	s_wait_alu 0xfffd
	v_add_co_ci_u32_e64 v4, null, s21, v4, vcc_lo
	v_cmp_le_i64_e32 vcc_lo, s[12:13], v[0:1]
	v_add_co_u32 v5, s0, s22, v5
	s_wait_alu 0xf1ff
	v_add_co_ci_u32_e64 v6, null, s23, v6, s0
	global_store_b32 v[3:4], v10, off
	global_store_b64 v[5:6], v[7:8], off
	s_or_b32 s17, vcc_lo, s17
	s_wait_alu 0xfffe
	s_and_not1_b32 exec_lo, exec_lo, s17
	s_cbranch_execz .LBB7_27
.LBB7_4:                                ; =>This Loop Header: Depth=1
                                        ;     Child Loop BB7_23 Depth 2
                                        ;       Child Loop BB7_25 Depth 3
	v_or_b32_e32 v3, s27, v1
                                        ; implicit-def: $vgpr6_vgpr7
	s_mov_b32 s0, exec_lo
	s_delay_alu instid0(VALU_DEP_1)
	v_cmpx_ne_u64_e32 0, v[2:3]
	s_wait_alu 0xfffe
	s_xor_b32 s1, exec_lo, s0
	s_cbranch_execz .LBB7_6
; %bb.5:                                ;   in Loop: Header=BB7_4 Depth=1
	s_mov_b32 s37, s36
	v_ashrrev_i32_e32 v9, 31, v1
	s_wait_alu 0xfffe
	s_add_nc_u64 s[38:39], s[26:27], s[36:37]
	s_wait_alu 0xfffe
	s_xor_b64 s[38:39], s[38:39], s[36:37]
	v_add_co_u32 v3, vcc_lo, v0, v9
	s_wait_alu 0xfffe
	s_cvt_f32_u32 s0, s38
	s_cvt_f32_u32 s2, s39
	s_sub_nc_u64 s[52:53], 0, s[38:39]
	s_wait_alu 0xfffd
	v_add_co_ci_u32_e64 v4, null, v1, v9, vcc_lo
	s_wait_alu 0xfffe
	s_fmamk_f32 s0, s2, 0x4f800000, s0
	v_xor_b32_e32 v10, v3, v9
	s_delay_alu instid0(VALU_DEP_2) | instskip(SKIP_2) | instid1(TRANS32_DEP_1)
	v_xor_b32_e32 v11, v4, v9
	s_wait_alu 0xfffe
	v_s_rcp_f32 s0, s0
	s_mul_f32 s0, s0, 0x5f7ffffc
	s_wait_alu 0xfffe
	s_delay_alu instid0(SALU_CYCLE_2) | instskip(SKIP_1) | instid1(SALU_CYCLE_2)
	s_mul_f32 s2, s0, 0x2f800000
	s_wait_alu 0xfffe
	s_trunc_f32 s2, s2
	s_wait_alu 0xfffe
	s_delay_alu instid0(SALU_CYCLE_2) | instskip(SKIP_2) | instid1(SALU_CYCLE_1)
	s_fmamk_f32 s0, s2, 0xcf800000, s0
	s_cvt_u32_f32 s41, s2
	s_wait_alu 0xfffe
	s_cvt_u32_f32 s40, s0
	s_wait_alu 0xfffe
	s_delay_alu instid0(SALU_CYCLE_2) | instskip(NEXT) | instid1(SALU_CYCLE_1)
	s_mul_u64 s[54:55], s[52:53], s[40:41]
	s_mul_hi_u32 s57, s40, s55
	s_mul_i32 s56, s40, s55
	s_mul_hi_u32 s2, s40, s54
	s_mul_i32 s37, s41, s54
	s_wait_alu 0xfffe
	s_add_nc_u64 s[56:57], s[2:3], s[56:57]
	s_mul_hi_u32 s0, s41, s54
	s_mul_hi_u32 s58, s41, s55
	s_add_co_u32 s2, s56, s37
	s_wait_alu 0xfffe
	s_add_co_ci_u32 s2, s57, s0
	s_mul_i32 s54, s41, s55
	s_add_co_ci_u32 s55, s58, 0
	s_wait_alu 0xfffe
	s_add_nc_u64 s[54:55], s[2:3], s[54:55]
	s_delay_alu instid0(SALU_CYCLE_1)
	s_add_co_u32 s40, s40, s54
	s_cselect_b32 s0, -1, 0
	s_wait_alu 0xfffe
	s_cmp_lg_u32 s0, 0
	s_add_co_ci_u32 s41, s41, s55
	s_wait_alu 0xfffe
	s_mul_u64 s[52:53], s[52:53], s[40:41]
	s_delay_alu instid0(SALU_CYCLE_1)
	s_mul_hi_u32 s55, s40, s53
	s_mul_i32 s54, s40, s53
	s_mul_hi_u32 s2, s40, s52
	s_mul_i32 s37, s41, s52
	s_wait_alu 0xfffe
	s_add_nc_u64 s[54:55], s[2:3], s[54:55]
	s_mul_hi_u32 s0, s41, s52
	s_mul_hi_u32 s56, s41, s53
	s_add_co_u32 s2, s54, s37
	s_wait_alu 0xfffe
	s_add_co_ci_u32 s2, s55, s0
	s_mul_i32 s52, s41, s53
	s_add_co_ci_u32 s53, s56, 0
	s_wait_alu 0xfffe
	s_add_nc_u64 s[52:53], s[2:3], s[52:53]
	s_delay_alu instid0(SALU_CYCLE_1)
	s_add_co_u32 s0, s40, s52
	s_cselect_b32 s2, -1, 0
	s_wait_alu 0xfffe
	v_mul_hi_u32 v12, v10, s0
	s_cmp_lg_u32 s2, 0
	v_mad_co_u64_u32 v[5:6], null, v11, s0, 0
	s_add_co_ci_u32 s2, s41, s53
	s_wait_alu 0xfffe
	v_mad_co_u64_u32 v[3:4], null, v10, s2, 0
	v_mad_co_u64_u32 v[7:8], null, v11, s2, 0
	s_delay_alu instid0(VALU_DEP_2) | instskip(SKIP_1) | instid1(VALU_DEP_3)
	v_add_co_u32 v3, vcc_lo, v12, v3
	s_wait_alu 0xfffd
	v_add_co_ci_u32_e64 v4, null, 0, v4, vcc_lo
	s_delay_alu instid0(VALU_DEP_2) | instskip(SKIP_1) | instid1(VALU_DEP_2)
	v_add_co_u32 v3, vcc_lo, v3, v5
	s_wait_alu 0xfffd
	v_add_co_ci_u32_e32 v3, vcc_lo, v4, v6, vcc_lo
	s_wait_alu 0xfffd
	v_add_co_ci_u32_e32 v4, vcc_lo, 0, v8, vcc_lo
	s_delay_alu instid0(VALU_DEP_2) | instskip(SKIP_1) | instid1(VALU_DEP_2)
	v_add_co_u32 v5, vcc_lo, v3, v7
	s_wait_alu 0xfffd
	v_add_co_ci_u32_e64 v6, null, 0, v4, vcc_lo
	s_delay_alu instid0(VALU_DEP_2) | instskip(SKIP_1) | instid1(VALU_DEP_3)
	v_mul_lo_u32 v7, s39, v5
	v_mad_co_u64_u32 v[3:4], null, s38, v5, 0
	v_mul_lo_u32 v8, s38, v6
	s_delay_alu instid0(VALU_DEP_2) | instskip(NEXT) | instid1(VALU_DEP_2)
	v_sub_co_u32 v3, vcc_lo, v10, v3
	v_add3_u32 v4, v4, v8, v7
	v_add_co_u32 v8, s0, v5, 2
	s_wait_alu 0xf1ff
	v_add_co_ci_u32_e64 v10, null, 0, v6, s0
	s_delay_alu instid0(VALU_DEP_3) | instskip(SKIP_3) | instid1(VALU_DEP_3)
	v_sub_nc_u32_e32 v7, v11, v4
	v_sub_co_u32 v12, s0, v3, s38
	s_wait_alu 0xfffd
	v_sub_co_ci_u32_e64 v4, null, v11, v4, vcc_lo
	v_subrev_co_ci_u32_e64 v7, null, s39, v7, vcc_lo
	s_delay_alu instid0(VALU_DEP_3) | instskip(SKIP_1) | instid1(VALU_DEP_2)
	v_cmp_le_u32_e32 vcc_lo, s38, v12
	s_wait_alu 0xf1ff
	v_subrev_co_ci_u32_e64 v7, null, 0, v7, s0
	s_wait_alu 0xfffd
	v_cndmask_b32_e64 v11, 0, -1, vcc_lo
	s_delay_alu instid0(VALU_DEP_2)
	v_cmp_le_u32_e32 vcc_lo, s39, v7
	s_wait_alu 0xfffd
	v_cndmask_b32_e64 v12, 0, -1, vcc_lo
	v_cmp_le_u32_e32 vcc_lo, s38, v3
	s_wait_alu 0xfffd
	v_cndmask_b32_e64 v3, 0, -1, vcc_lo
	;; [unrolled: 3-line block ×3, first 2 shown]
	v_cmp_eq_u32_e32 vcc_lo, s39, v7
	s_wait_alu 0xfffd
	v_cndmask_b32_e32 v7, v12, v11, vcc_lo
	v_add_co_u32 v11, vcc_lo, v5, 1
	s_wait_alu 0xfffd
	v_add_co_ci_u32_e64 v12, null, 0, v6, vcc_lo
	v_cmp_eq_u32_e32 vcc_lo, s39, v4
	s_wait_alu 0xfffd
	v_cndmask_b32_e32 v3, v13, v3, vcc_lo
	v_cmp_ne_u32_e32 vcc_lo, 0, v7
	v_xor_b32_e32 v7, s36, v9
	s_wait_alu 0xfffd
	v_cndmask_b32_e32 v4, v12, v10, vcc_lo
	v_cmp_ne_u32_e64 s0, 0, v3
	v_cndmask_b32_e32 v3, v11, v8, vcc_lo
	s_wait_alu 0xf1ff
	s_delay_alu instid0(VALU_DEP_2) | instskip(NEXT) | instid1(VALU_DEP_2)
	v_cndmask_b32_e64 v4, v6, v4, s0
	v_cndmask_b32_e64 v3, v5, v3, s0
	s_delay_alu instid0(VALU_DEP_2) | instskip(NEXT) | instid1(VALU_DEP_2)
	v_xor_b32_e32 v4, v4, v7
	v_xor_b32_e32 v3, v3, v7
	s_delay_alu instid0(VALU_DEP_1) | instskip(SKIP_1) | instid1(VALU_DEP_3)
	v_sub_co_u32 v6, vcc_lo, v3, v7
	s_wait_alu 0xfffd
	v_sub_co_ci_u32_e64 v7, null, v4, v7, vcc_lo
.LBB7_6:                                ;   in Loop: Header=BB7_4 Depth=1
	s_wait_alu 0xfffe
	s_and_not1_saveexec_b32 s0, s1
	s_cbranch_execz .LBB7_8
; %bb.7:                                ;   in Loop: Header=BB7_4 Depth=1
	s_sub_co_i32 s1, 0, s26
	v_mov_b32_e32 v7, v2
	s_wait_alu 0xfffe
	v_mul_lo_u32 v3, s1, v15
	s_delay_alu instid0(VALU_DEP_1) | instskip(NEXT) | instid1(VALU_DEP_1)
	v_mul_hi_u32 v3, v15, v3
	v_add_nc_u32_e32 v3, v15, v3
	s_delay_alu instid0(VALU_DEP_1) | instskip(NEXT) | instid1(VALU_DEP_1)
	v_mul_hi_u32 v3, v0, v3
	v_mul_lo_u32 v4, v3, s26
	v_add_nc_u32_e32 v5, 1, v3
	s_delay_alu instid0(VALU_DEP_2) | instskip(NEXT) | instid1(VALU_DEP_1)
	v_sub_nc_u32_e32 v4, v0, v4
	v_subrev_nc_u32_e32 v6, s26, v4
	v_cmp_le_u32_e32 vcc_lo, s26, v4
	s_wait_alu 0xfffd
	s_delay_alu instid0(VALU_DEP_2) | instskip(NEXT) | instid1(VALU_DEP_1)
	v_dual_cndmask_b32 v4, v4, v6 :: v_dual_cndmask_b32 v3, v3, v5
	v_cmp_le_u32_e32 vcc_lo, s26, v4
	s_delay_alu instid0(VALU_DEP_2) | instskip(SKIP_1) | instid1(VALU_DEP_1)
	v_add_nc_u32_e32 v5, 1, v3
	s_wait_alu 0xfffd
	v_cndmask_b32_e32 v6, v3, v5, vcc_lo
.LBB7_8:                                ;   in Loop: Header=BB7_4 Depth=1
	s_wait_alu 0xfffe
	s_or_b32 exec_lo, exec_lo, s0
	v_or_b32_e32 v3, s5, v7
                                        ; implicit-def: $vgpr4_vgpr5
	s_mov_b32 s0, exec_lo
	s_delay_alu instid0(VALU_DEP_1)
	v_cmpx_ne_u64_e32 0, v[2:3]
	s_wait_alu 0xfffe
	s_xor_b32 s1, exec_lo, s0
	s_cbranch_execz .LBB7_10
; %bb.9:                                ;   in Loop: Header=BB7_4 Depth=1
	s_ashr_i32 s38, s5, 31
	v_ashrrev_i32_e32 v5, 31, v7
	s_wait_alu 0xfffe
	s_mov_b32 s39, s38
	s_wait_alu 0xfffe
	s_add_nc_u64 s[40:41], s[4:5], s[38:39]
	v_add_co_u32 v3, vcc_lo, v6, v5
	s_wait_alu 0xfffe
	s_xor_b64 s[40:41], s[40:41], s[38:39]
	s_wait_alu 0xfffd
	v_add_co_ci_u32_e64 v4, null, v7, v5, vcc_lo
	s_wait_alu 0xfffe
	s_cvt_f32_u32 s0, s40
	s_cvt_f32_u32 s2, s41
	s_sub_nc_u64 s[54:55], 0, s[40:41]
	v_xor_b32_e32 v12, v3, v5
	v_xor_b32_e32 v13, v4, v5
	s_wait_alu 0xfffe
	s_fmamk_f32 s0, s2, 0x4f800000, s0
	v_xor_b32_e32 v5, s38, v5
	s_wait_alu 0xfffe
	s_delay_alu instid0(SALU_CYCLE_1) | instskip(NEXT) | instid1(TRANS32_DEP_1)
	v_s_rcp_f32 s0, s0
	s_mul_f32 s0, s0, 0x5f7ffffc
	s_wait_alu 0xfffe
	s_delay_alu instid0(SALU_CYCLE_2) | instskip(SKIP_1) | instid1(SALU_CYCLE_2)
	s_mul_f32 s2, s0, 0x2f800000
	s_wait_alu 0xfffe
	s_trunc_f32 s2, s2
	s_wait_alu 0xfffe
	s_delay_alu instid0(SALU_CYCLE_2) | instskip(SKIP_2) | instid1(SALU_CYCLE_1)
	s_fmamk_f32 s0, s2, 0xcf800000, s0
	s_cvt_u32_f32 s53, s2
	s_wait_alu 0xfffe
	s_cvt_u32_f32 s52, s0
	s_delay_alu instid0(SALU_CYCLE_3) | instskip(NEXT) | instid1(SALU_CYCLE_1)
	s_mul_u64 s[56:57], s[54:55], s[52:53]
	s_mul_hi_u32 s59, s52, s57
	s_mul_i32 s58, s52, s57
	s_mul_hi_u32 s2, s52, s56
	s_mul_i32 s37, s53, s56
	s_wait_alu 0xfffe
	s_add_nc_u64 s[58:59], s[2:3], s[58:59]
	s_mul_hi_u32 s0, s53, s56
	s_mul_hi_u32 s39, s53, s57
	s_add_co_u32 s2, s58, s37
	s_wait_alu 0xfffe
	s_add_co_ci_u32 s2, s59, s0
	s_mul_i32 s56, s53, s57
	s_add_co_ci_u32 s57, s39, 0
	s_wait_alu 0xfffe
	s_add_nc_u64 s[56:57], s[2:3], s[56:57]
	s_delay_alu instid0(SALU_CYCLE_1) | instskip(SKIP_4) | instid1(SALU_CYCLE_1)
	s_add_co_u32 s52, s52, s56
	s_cselect_b32 s0, -1, 0
	s_wait_alu 0xfffe
	s_cmp_lg_u32 s0, 0
	s_add_co_ci_u32 s53, s53, s57
	s_mul_u64 s[54:55], s[54:55], s[52:53]
	s_delay_alu instid0(SALU_CYCLE_1)
	s_mul_hi_u32 s57, s52, s55
	s_mul_i32 s56, s52, s55
	s_mul_hi_u32 s2, s52, s54
	s_mul_i32 s37, s53, s54
	s_wait_alu 0xfffe
	s_add_nc_u64 s[56:57], s[2:3], s[56:57]
	s_mul_hi_u32 s0, s53, s54
	s_mul_hi_u32 s39, s53, s55
	s_add_co_u32 s2, s56, s37
	s_wait_alu 0xfffe
	s_add_co_ci_u32 s2, s57, s0
	s_mul_i32 s54, s53, s55
	s_add_co_ci_u32 s55, s39, 0
	s_wait_alu 0xfffe
	s_add_nc_u64 s[54:55], s[2:3], s[54:55]
	s_delay_alu instid0(SALU_CYCLE_1)
	s_add_co_u32 s0, s52, s54
	s_cselect_b32 s2, -1, 0
	s_wait_alu 0xfffe
	v_mul_hi_u32 v14, v12, s0
	s_cmp_lg_u32 s2, 0
	v_mad_co_u64_u32 v[8:9], null, v13, s0, 0
	s_add_co_ci_u32 s2, s53, s55
	s_wait_alu 0xfffe
	v_mad_co_u64_u32 v[3:4], null, v12, s2, 0
	v_mad_co_u64_u32 v[10:11], null, v13, s2, 0
	s_delay_alu instid0(VALU_DEP_2) | instskip(SKIP_1) | instid1(VALU_DEP_3)
	v_add_co_u32 v3, vcc_lo, v14, v3
	s_wait_alu 0xfffd
	v_add_co_ci_u32_e64 v4, null, 0, v4, vcc_lo
	s_delay_alu instid0(VALU_DEP_2) | instskip(SKIP_1) | instid1(VALU_DEP_2)
	v_add_co_u32 v3, vcc_lo, v3, v8
	s_wait_alu 0xfffd
	v_add_co_ci_u32_e32 v3, vcc_lo, v4, v9, vcc_lo
	s_wait_alu 0xfffd
	v_add_co_ci_u32_e32 v4, vcc_lo, 0, v11, vcc_lo
	s_delay_alu instid0(VALU_DEP_2) | instskip(SKIP_1) | instid1(VALU_DEP_2)
	v_add_co_u32 v8, vcc_lo, v3, v10
	s_wait_alu 0xfffd
	v_add_co_ci_u32_e64 v9, null, 0, v4, vcc_lo
	s_delay_alu instid0(VALU_DEP_2) | instskip(SKIP_1) | instid1(VALU_DEP_3)
	v_mul_lo_u32 v10, s41, v8
	v_mad_co_u64_u32 v[3:4], null, s40, v8, 0
	v_mul_lo_u32 v11, s40, v9
	s_delay_alu instid0(VALU_DEP_2) | instskip(NEXT) | instid1(VALU_DEP_2)
	v_sub_co_u32 v3, vcc_lo, v12, v3
	v_add3_u32 v4, v4, v11, v10
	v_add_co_u32 v11, s0, v8, 2
	s_wait_alu 0xf1ff
	v_add_co_ci_u32_e64 v12, null, 0, v9, s0
	s_delay_alu instid0(VALU_DEP_3) | instskip(SKIP_3) | instid1(VALU_DEP_3)
	v_sub_nc_u32_e32 v10, v13, v4
	v_sub_co_u32 v14, s0, v3, s40
	s_wait_alu 0xfffd
	v_sub_co_ci_u32_e64 v4, null, v13, v4, vcc_lo
	v_subrev_co_ci_u32_e64 v10, null, s41, v10, vcc_lo
	s_delay_alu instid0(VALU_DEP_3) | instskip(SKIP_1) | instid1(VALU_DEP_2)
	v_cmp_le_u32_e32 vcc_lo, s40, v14
	s_wait_alu 0xf1ff
	v_subrev_co_ci_u32_e64 v10, null, 0, v10, s0
	s_wait_alu 0xfffd
	v_cndmask_b32_e64 v13, 0, -1, vcc_lo
	s_delay_alu instid0(VALU_DEP_2)
	v_cmp_le_u32_e32 vcc_lo, s41, v10
	s_wait_alu 0xfffd
	v_cndmask_b32_e64 v14, 0, -1, vcc_lo
	v_cmp_le_u32_e32 vcc_lo, s40, v3
	s_wait_alu 0xfffd
	v_cndmask_b32_e64 v3, 0, -1, vcc_lo
	;; [unrolled: 3-line block ×3, first 2 shown]
	v_cmp_eq_u32_e32 vcc_lo, s41, v10
	s_wait_alu 0xfffd
	v_cndmask_b32_e32 v10, v14, v13, vcc_lo
	v_add_co_u32 v13, vcc_lo, v8, 1
	s_wait_alu 0xfffd
	v_add_co_ci_u32_e64 v14, null, 0, v9, vcc_lo
	v_cmp_eq_u32_e32 vcc_lo, s41, v4
	s_wait_alu 0xfffd
	v_cndmask_b32_e32 v3, v17, v3, vcc_lo
	v_cmp_ne_u32_e32 vcc_lo, 0, v10
	s_delay_alu instid0(VALU_DEP_2) | instskip(SKIP_3) | instid1(VALU_DEP_1)
	v_cmp_ne_u32_e64 s0, 0, v3
	s_wait_alu 0xfffd
	v_dual_cndmask_b32 v4, v14, v12 :: v_dual_cndmask_b32 v3, v13, v11
	s_wait_alu 0xf1ff
	v_cndmask_b32_e64 v4, v9, v4, s0
	s_delay_alu instid0(VALU_DEP_2) | instskip(NEXT) | instid1(VALU_DEP_2)
	v_cndmask_b32_e64 v3, v8, v3, s0
	v_xor_b32_e32 v8, v4, v5
	s_delay_alu instid0(VALU_DEP_2) | instskip(NEXT) | instid1(VALU_DEP_1)
	v_xor_b32_e32 v3, v3, v5
	v_sub_co_u32 v4, vcc_lo, v3, v5
	s_wait_alu 0xfffd
	s_delay_alu instid0(VALU_DEP_3)
	v_sub_co_ci_u32_e64 v5, null, v8, v5, vcc_lo
.LBB7_10:                               ;   in Loop: Header=BB7_4 Depth=1
	s_wait_alu 0xfffe
	s_and_not1_saveexec_b32 s0, s1
	s_cbranch_execz .LBB7_12
; %bb.11:                               ;   in Loop: Header=BB7_4 Depth=1
	s_sub_co_i32 s1, 0, s4
	s_wait_alu 0xfffe
	v_mul_lo_u32 v3, s1, v16
	s_delay_alu instid0(VALU_DEP_1) | instskip(NEXT) | instid1(VALU_DEP_1)
	v_mul_hi_u32 v3, v16, v3
	v_add_nc_u32_e32 v3, v16, v3
	s_delay_alu instid0(VALU_DEP_1) | instskip(NEXT) | instid1(VALU_DEP_1)
	v_mul_hi_u32 v3, v6, v3
	v_mul_lo_u32 v4, v3, s4
	s_delay_alu instid0(VALU_DEP_1) | instskip(NEXT) | instid1(VALU_DEP_1)
	v_sub_nc_u32_e32 v4, v6, v4
	v_subrev_nc_u32_e32 v8, s4, v4
	v_cmp_le_u32_e32 vcc_lo, s4, v4
	s_wait_alu 0xfffd
	s_delay_alu instid0(VALU_DEP_2) | instskip(NEXT) | instid1(VALU_DEP_1)
	v_dual_cndmask_b32 v4, v4, v8 :: v_dual_add_nc_u32 v5, 1, v3
	v_cndmask_b32_e32 v3, v3, v5, vcc_lo
	s_delay_alu instid0(VALU_DEP_2) | instskip(NEXT) | instid1(VALU_DEP_2)
	v_cmp_le_u32_e32 vcc_lo, s4, v4
	v_add_nc_u32_e32 v5, 1, v3
	s_wait_alu 0xfffd
	s_delay_alu instid0(VALU_DEP_1)
	v_dual_cndmask_b32 v4, v3, v5 :: v_dual_mov_b32 v5, v2
.LBB7_12:                               ;   in Loop: Header=BB7_4 Depth=1
	s_wait_alu 0xfffe
	s_or_b32 exec_lo, exec_lo, s0
	s_delay_alu instid0(VALU_DEP_1) | instskip(NEXT) | instid1(VALU_DEP_2)
	v_mul_lo_u32 v3, v5, s4
	v_mul_lo_u32 v10, v4, s5
	v_mad_co_u64_u32 v[8:9], null, v4, s4, 0
	s_mov_b32 s0, exec_lo
	v_add3_u32 v3, v9, v10, v3
	v_sub_co_u32 v8, vcc_lo, v6, v8
	s_wait_alu 0xfffd
	s_delay_alu instid0(VALU_DEP_2) | instskip(NEXT) | instid1(VALU_DEP_2)
	v_sub_co_ci_u32_e64 v3, null, v7, v3, vcc_lo
	v_mul_lo_u32 v9, v8, s33
	v_mad_co_u64_u32 v[10:11], null, v8, s42, 0
	s_delay_alu instid0(VALU_DEP_3) | instskip(NEXT) | instid1(VALU_DEP_2)
	v_mul_lo_u32 v3, v3, s42
	v_sub_co_u32 v8, vcc_lo, v10, s44
	s_delay_alu instid0(VALU_DEP_2) | instskip(SKIP_1) | instid1(VALU_DEP_1)
	v_add3_u32 v11, v11, v9, v3
	s_wait_alu 0xfffd
	v_subrev_co_ci_u32_e64 v9, null, s43, v11, vcc_lo
	s_delay_alu instid0(VALU_DEP_1) | instskip(SKIP_2) | instid1(VALU_DEP_1)
	v_cmp_lt_i64_e32 vcc_lo, 0, v[8:9]
	s_wait_alu 0xfffd
	v_dual_cndmask_b32 v3, 0, v9 :: v_dual_cndmask_b32 v12, 0, v8
	v_add_co_u32 v12, vcc_lo, v12, s44
	s_wait_alu 0xfffd
	s_delay_alu instid0(VALU_DEP_2) | instskip(NEXT) | instid1(VALU_DEP_1)
	v_add_co_ci_u32_e64 v13, null, s43, v3, vcc_lo
	v_cmp_ne_u64_e32 vcc_lo, v[12:13], v[10:11]
	s_wait_alu 0xfffd
	v_cndmask_b32_e64 v14, 0, 1, vcc_lo
	s_delay_alu instid0(VALU_DEP_1) | instskip(SKIP_2) | instid1(VALU_DEP_2)
	v_add_co_u32 v3, vcc_lo, v10, v14
	s_wait_alu 0xfffd
	v_add_co_ci_u32_e64 v10, null, 0, v11, vcc_lo
	v_sub_co_u32 v12, vcc_lo, v12, v3
	s_wait_alu 0xfffd
	s_delay_alu instid0(VALU_DEP_2) | instskip(NEXT) | instid1(VALU_DEP_1)
	v_sub_co_ci_u32_e64 v13, null, v13, v10, vcc_lo
                                        ; implicit-def: $vgpr10_vgpr11
	v_or_b32_e32 v3, s11, v13
	s_delay_alu instid0(VALU_DEP_1)
	v_cmpx_ne_u64_e32 0, v[2:3]
	s_wait_alu 0xfffe
	s_xor_b32 s1, exec_lo, s0
	s_cbranch_execz .LBB7_14
; %bb.13:                               ;   in Loop: Header=BB7_4 Depth=1
	s_cvt_f32_u32 s0, s10
	s_cvt_f32_u32 s2, s11
	s_sub_nc_u64 s[40:41], 0, s[10:11]
	s_wait_alu 0xfffe
	s_delay_alu instid0(SALU_CYCLE_1) | instskip(SKIP_1) | instid1(SALU_CYCLE_2)
	s_fmamk_f32 s0, s2, 0x4f800000, s0
	s_wait_alu 0xfffe
	v_s_rcp_f32 s0, s0
	s_delay_alu instid0(TRANS32_DEP_1) | instskip(SKIP_1) | instid1(SALU_CYCLE_2)
	s_mul_f32 s0, s0, 0x5f7ffffc
	s_wait_alu 0xfffe
	s_mul_f32 s2, s0, 0x2f800000
	s_wait_alu 0xfffe
	s_delay_alu instid0(SALU_CYCLE_2) | instskip(SKIP_1) | instid1(SALU_CYCLE_2)
	s_trunc_f32 s2, s2
	s_wait_alu 0xfffe
	s_fmamk_f32 s0, s2, 0xcf800000, s0
	s_cvt_u32_f32 s39, s2
	s_wait_alu 0xfffe
	s_delay_alu instid0(SALU_CYCLE_1) | instskip(SKIP_1) | instid1(SALU_CYCLE_2)
	s_cvt_u32_f32 s38, s0
	s_wait_alu 0xfffe
	s_mul_u64 s[52:53], s[40:41], s[38:39]
	s_delay_alu instid0(SALU_CYCLE_1)
	s_mul_hi_u32 s55, s38, s53
	s_mul_i32 s54, s38, s53
	s_mul_hi_u32 s2, s38, s52
	s_mul_i32 s37, s39, s52
	s_wait_alu 0xfffe
	s_add_nc_u64 s[54:55], s[2:3], s[54:55]
	s_mul_hi_u32 s0, s39, s52
	s_mul_hi_u32 s56, s39, s53
	s_add_co_u32 s2, s54, s37
	s_wait_alu 0xfffe
	s_add_co_ci_u32 s2, s55, s0
	s_mul_i32 s52, s39, s53
	s_add_co_ci_u32 s53, s56, 0
	s_wait_alu 0xfffe
	s_add_nc_u64 s[52:53], s[2:3], s[52:53]
	s_delay_alu instid0(SALU_CYCLE_1)
	s_add_co_u32 s38, s38, s52
	s_cselect_b32 s0, -1, 0
	s_wait_alu 0xfffe
	s_cmp_lg_u32 s0, 0
	s_add_co_ci_u32 s39, s39, s53
	s_wait_alu 0xfffe
	s_mul_u64 s[40:41], s[40:41], s[38:39]
	s_wait_alu 0xfffe
	s_mul_hi_u32 s53, s38, s41
	s_mul_i32 s52, s38, s41
	s_mul_hi_u32 s2, s38, s40
	s_mul_i32 s37, s39, s40
	s_wait_alu 0xfffe
	s_add_nc_u64 s[52:53], s[2:3], s[52:53]
	s_mul_hi_u32 s0, s39, s40
	s_mul_hi_u32 s54, s39, s41
	s_add_co_u32 s2, s52, s37
	s_wait_alu 0xfffe
	s_add_co_ci_u32 s2, s53, s0
	s_mul_i32 s40, s39, s41
	s_add_co_ci_u32 s41, s54, 0
	s_wait_alu 0xfffe
	s_add_nc_u64 s[40:41], s[2:3], s[40:41]
	s_wait_alu 0xfffe
	s_add_co_u32 s0, s38, s40
	s_cselect_b32 s2, -1, 0
	s_wait_alu 0xfffe
	v_mul_hi_u32 v3, v12, s0
	s_cmp_lg_u32 s2, 0
	v_mad_co_u64_u32 v[17:18], null, v13, s0, 0
	s_add_co_ci_u32 s2, s39, s41
	s_wait_alu 0xfffe
	v_mad_co_u64_u32 v[10:11], null, v12, s2, 0
	v_mad_co_u64_u32 v[19:20], null, v13, s2, 0
	s_delay_alu instid0(VALU_DEP_2) | instskip(SKIP_1) | instid1(VALU_DEP_3)
	v_add_co_u32 v3, vcc_lo, v3, v10
	s_wait_alu 0xfffd
	v_add_co_ci_u32_e64 v10, null, 0, v11, vcc_lo
	s_delay_alu instid0(VALU_DEP_2) | instskip(SKIP_1) | instid1(VALU_DEP_2)
	v_add_co_u32 v3, vcc_lo, v3, v17
	s_wait_alu 0xfffd
	v_add_co_ci_u32_e32 v3, vcc_lo, v10, v18, vcc_lo
	s_wait_alu 0xfffd
	v_add_co_ci_u32_e32 v10, vcc_lo, 0, v20, vcc_lo
	s_delay_alu instid0(VALU_DEP_2) | instskip(SKIP_1) | instid1(VALU_DEP_2)
	v_add_co_u32 v3, vcc_lo, v3, v19
	s_wait_alu 0xfffd
	v_add_co_ci_u32_e64 v17, null, 0, v10, vcc_lo
	s_delay_alu instid0(VALU_DEP_2) | instskip(SKIP_1) | instid1(VALU_DEP_3)
	v_mul_lo_u32 v18, s11, v3
	v_mad_co_u64_u32 v[10:11], null, s10, v3, 0
	v_mul_lo_u32 v19, s10, v17
	s_delay_alu instid0(VALU_DEP_2) | instskip(NEXT) | instid1(VALU_DEP_2)
	v_sub_co_u32 v10, vcc_lo, v12, v10
	v_add3_u32 v11, v11, v19, v18
	s_delay_alu instid0(VALU_DEP_1) | instskip(SKIP_2) | instid1(VALU_DEP_2)
	v_sub_nc_u32_e32 v18, v13, v11
	s_wait_alu 0xfffd
	v_sub_co_ci_u32_e64 v11, null, v13, v11, vcc_lo
	v_subrev_co_ci_u32_e64 v12, null, s11, v18, vcc_lo
	v_add_co_u32 v18, s0, v3, 2
	s_wait_alu 0xf1ff
	v_add_co_ci_u32_e64 v19, null, 0, v17, s0
	v_sub_co_u32 v20, s0, v10, s10
	s_wait_alu 0xf1ff
	v_subrev_co_ci_u32_e64 v12, null, 0, v12, s0
	v_cmp_eq_u32_e64 s0, s11, v11
	s_delay_alu instid0(VALU_DEP_3)
	v_cmp_le_u32_e32 vcc_lo, s10, v20
	s_wait_alu 0xfffd
	v_cndmask_b32_e64 v13, 0, -1, vcc_lo
	v_cmp_le_u32_e32 vcc_lo, s11, v12
	s_wait_alu 0xfffd
	v_cndmask_b32_e64 v20, 0, -1, vcc_lo
	v_cmp_le_u32_e32 vcc_lo, s10, v10
	s_wait_alu 0xfffd
	v_cndmask_b32_e64 v10, 0, -1, vcc_lo
	v_cmp_le_u32_e32 vcc_lo, s11, v11
	s_wait_alu 0xfffd
	v_cndmask_b32_e64 v21, 0, -1, vcc_lo
	v_cmp_eq_u32_e32 vcc_lo, s11, v12
	s_wait_alu 0xf1ff
	s_delay_alu instid0(VALU_DEP_2)
	v_cndmask_b32_e64 v10, v21, v10, s0
	s_wait_alu 0xfffd
	v_cndmask_b32_e32 v12, v20, v13, vcc_lo
	v_add_co_u32 v13, vcc_lo, v3, 1
	s_wait_alu 0xfffd
	v_add_co_ci_u32_e64 v20, null, 0, v17, vcc_lo
	s_delay_alu instid0(VALU_DEP_3) | instskip(SKIP_1) | instid1(VALU_DEP_2)
	v_cmp_ne_u32_e32 vcc_lo, 0, v12
	s_wait_alu 0xfffd
	v_dual_cndmask_b32 v11, v20, v19 :: v_dual_cndmask_b32 v12, v13, v18
	v_cmp_ne_u32_e32 vcc_lo, 0, v10
	s_wait_alu 0xfffd
	s_delay_alu instid0(VALU_DEP_2)
	v_dual_cndmask_b32 v11, v17, v11 :: v_dual_cndmask_b32 v10, v3, v12
                                        ; implicit-def: $vgpr12
.LBB7_14:                               ;   in Loop: Header=BB7_4 Depth=1
	s_wait_alu 0xfffe
	s_and_not1_saveexec_b32 s0, s1
	s_cbranch_execz .LBB7_16
; %bb.15:                               ;   in Loop: Header=BB7_4 Depth=1
	v_cvt_f32_u32_e32 v3, s10
	s_sub_co_i32 s1, 0, s10
	s_delay_alu instid0(VALU_DEP_1) | instskip(NEXT) | instid1(TRANS32_DEP_1)
	v_rcp_iflag_f32_e32 v3, v3
	v_mul_f32_e32 v3, 0x4f7ffffe, v3
	s_delay_alu instid0(VALU_DEP_1) | instskip(SKIP_1) | instid1(VALU_DEP_1)
	v_cvt_u32_f32_e32 v3, v3
	s_wait_alu 0xfffe
	v_mul_lo_u32 v10, s1, v3
	s_delay_alu instid0(VALU_DEP_1) | instskip(NEXT) | instid1(VALU_DEP_1)
	v_mul_hi_u32 v10, v3, v10
	v_add_nc_u32_e32 v3, v3, v10
	s_delay_alu instid0(VALU_DEP_1) | instskip(NEXT) | instid1(VALU_DEP_1)
	v_mul_hi_u32 v3, v12, v3
	v_mul_lo_u32 v10, v3, s10
	v_add_nc_u32_e32 v11, 1, v3
	s_delay_alu instid0(VALU_DEP_2) | instskip(NEXT) | instid1(VALU_DEP_1)
	v_sub_nc_u32_e32 v10, v12, v10
	v_subrev_nc_u32_e32 v12, s10, v10
	v_cmp_le_u32_e32 vcc_lo, s10, v10
	s_wait_alu 0xfffd
	s_delay_alu instid0(VALU_DEP_2) | instskip(NEXT) | instid1(VALU_DEP_1)
	v_dual_cndmask_b32 v10, v10, v12 :: v_dual_cndmask_b32 v3, v3, v11
	v_cmp_le_u32_e32 vcc_lo, s10, v10
	s_delay_alu instid0(VALU_DEP_2) | instskip(SKIP_1) | instid1(VALU_DEP_1)
	v_add_nc_u32_e32 v11, 1, v3
	s_wait_alu 0xfffd
	v_dual_cndmask_b32 v10, v3, v11 :: v_dual_mov_b32 v11, v2
.LBB7_16:                               ;   in Loop: Header=BB7_4 Depth=1
	s_wait_alu 0xfffe
	s_or_b32 exec_lo, exec_lo, s0
	v_mul_lo_u32 v3, v7, s26
	v_mul_lo_u32 v12, v6, s27
	v_mad_co_u64_u32 v[6:7], null, v6, s26, 0
	s_mov_b32 s0, exec_lo
	v_add3_u32 v3, v7, v12, v3
	v_sub_co_u32 v6, vcc_lo, v0, v6
	s_wait_alu 0xfffd
	s_delay_alu instid0(VALU_DEP_2) | instskip(NEXT) | instid1(VALU_DEP_2)
	v_sub_co_ci_u32_e64 v3, null, v1, v3, vcc_lo
	v_mul_lo_u32 v7, v6, s45
	v_mad_co_u64_u32 v[12:13], null, v6, s46, 0
	s_delay_alu instid0(VALU_DEP_3) | instskip(NEXT) | instid1(VALU_DEP_2)
	v_mul_lo_u32 v3, v3, s46
	v_sub_co_u32 v6, vcc_lo, v12, s48
	s_delay_alu instid0(VALU_DEP_2) | instskip(SKIP_1) | instid1(VALU_DEP_1)
	v_add3_u32 v13, v13, v7, v3
	s_wait_alu 0xfffd
	v_subrev_co_ci_u32_e64 v7, null, s47, v13, vcc_lo
	s_delay_alu instid0(VALU_DEP_1) | instskip(SKIP_3) | instid1(VALU_DEP_2)
	v_cmp_lt_i64_e32 vcc_lo, 0, v[6:7]
	s_wait_alu 0xfffd
	v_cndmask_b32_e32 v17, 0, v6, vcc_lo
	v_cndmask_b32_e32 v3, 0, v7, vcc_lo
	v_add_co_u32 v18, vcc_lo, v17, s48
	s_wait_alu 0xfffd
	s_delay_alu instid0(VALU_DEP_2) | instskip(NEXT) | instid1(VALU_DEP_1)
	v_add_co_ci_u32_e64 v19, null, s47, v3, vcc_lo
	v_cmp_ne_u64_e32 vcc_lo, v[18:19], v[12:13]
	s_wait_alu 0xfffd
	v_cndmask_b32_e64 v17, 0, 1, vcc_lo
	s_delay_alu instid0(VALU_DEP_1) | instskip(SKIP_2) | instid1(VALU_DEP_2)
	v_add_co_u32 v3, vcc_lo, v12, v17
	s_wait_alu 0xfffd
	v_add_co_ci_u32_e64 v12, null, 0, v13, vcc_lo
	v_sub_co_u32 v18, vcc_lo, v18, v3
	s_wait_alu 0xfffd
	s_delay_alu instid0(VALU_DEP_2) | instskip(NEXT) | instid1(VALU_DEP_1)
	v_sub_co_ci_u32_e64 v19, null, v19, v12, vcc_lo
                                        ; implicit-def: $vgpr12_vgpr13
	v_or_b32_e32 v3, s29, v19
	s_delay_alu instid0(VALU_DEP_1)
	v_cmpx_ne_u64_e32 0, v[2:3]
	s_wait_alu 0xfffe
	s_xor_b32 s1, exec_lo, s0
	s_cbranch_execz .LBB7_18
; %bb.17:                               ;   in Loop: Header=BB7_4 Depth=1
	s_cvt_f32_u32 s0, s28
	s_cvt_f32_u32 s2, s29
	s_sub_nc_u64 s[40:41], 0, s[28:29]
	s_wait_alu 0xfffe
	s_delay_alu instid0(SALU_CYCLE_1) | instskip(SKIP_1) | instid1(SALU_CYCLE_2)
	s_fmamk_f32 s0, s2, 0x4f800000, s0
	s_wait_alu 0xfffe
	v_s_rcp_f32 s0, s0
	s_delay_alu instid0(TRANS32_DEP_1) | instskip(SKIP_1) | instid1(SALU_CYCLE_2)
	s_mul_f32 s0, s0, 0x5f7ffffc
	s_wait_alu 0xfffe
	s_mul_f32 s2, s0, 0x2f800000
	s_wait_alu 0xfffe
	s_delay_alu instid0(SALU_CYCLE_2) | instskip(SKIP_1) | instid1(SALU_CYCLE_2)
	s_trunc_f32 s2, s2
	s_wait_alu 0xfffe
	s_fmamk_f32 s0, s2, 0xcf800000, s0
	s_cvt_u32_f32 s39, s2
	s_wait_alu 0xfffe
	s_delay_alu instid0(SALU_CYCLE_1) | instskip(SKIP_1) | instid1(SALU_CYCLE_2)
	s_cvt_u32_f32 s38, s0
	s_wait_alu 0xfffe
	s_mul_u64 s[52:53], s[40:41], s[38:39]
	s_delay_alu instid0(SALU_CYCLE_1)
	s_mul_hi_u32 s55, s38, s53
	s_mul_i32 s54, s38, s53
	s_mul_hi_u32 s2, s38, s52
	s_mul_i32 s37, s39, s52
	s_wait_alu 0xfffe
	s_add_nc_u64 s[54:55], s[2:3], s[54:55]
	s_mul_hi_u32 s0, s39, s52
	s_mul_hi_u32 s56, s39, s53
	s_add_co_u32 s2, s54, s37
	s_wait_alu 0xfffe
	s_add_co_ci_u32 s2, s55, s0
	s_mul_i32 s52, s39, s53
	s_add_co_ci_u32 s53, s56, 0
	s_wait_alu 0xfffe
	s_add_nc_u64 s[52:53], s[2:3], s[52:53]
	s_delay_alu instid0(SALU_CYCLE_1)
	s_add_co_u32 s38, s38, s52
	s_cselect_b32 s0, -1, 0
	s_wait_alu 0xfffe
	s_cmp_lg_u32 s0, 0
	s_add_co_ci_u32 s39, s39, s53
	s_wait_alu 0xfffe
	s_mul_u64 s[40:41], s[40:41], s[38:39]
	s_wait_alu 0xfffe
	s_mul_hi_u32 s53, s38, s41
	s_mul_i32 s52, s38, s41
	s_mul_hi_u32 s2, s38, s40
	s_mul_i32 s37, s39, s40
	s_wait_alu 0xfffe
	s_add_nc_u64 s[52:53], s[2:3], s[52:53]
	s_mul_hi_u32 s0, s39, s40
	s_mul_hi_u32 s54, s39, s41
	s_add_co_u32 s2, s52, s37
	s_wait_alu 0xfffe
	s_add_co_ci_u32 s2, s53, s0
	s_mul_i32 s40, s39, s41
	s_add_co_ci_u32 s41, s54, 0
	s_wait_alu 0xfffe
	s_add_nc_u64 s[40:41], s[2:3], s[40:41]
	s_wait_alu 0xfffe
	s_add_co_u32 s0, s38, s40
	s_cselect_b32 s2, -1, 0
	s_wait_alu 0xfffe
	v_mul_hi_u32 v3, v18, s0
	s_cmp_lg_u32 s2, 0
	v_mad_co_u64_u32 v[20:21], null, v19, s0, 0
	s_add_co_ci_u32 s2, s39, s41
	s_wait_alu 0xfffe
	v_mad_co_u64_u32 v[12:13], null, v18, s2, 0
	v_mad_co_u64_u32 v[22:23], null, v19, s2, 0
	s_delay_alu instid0(VALU_DEP_2) | instskip(SKIP_1) | instid1(VALU_DEP_3)
	v_add_co_u32 v3, vcc_lo, v3, v12
	s_wait_alu 0xfffd
	v_add_co_ci_u32_e64 v12, null, 0, v13, vcc_lo
	s_delay_alu instid0(VALU_DEP_2) | instskip(SKIP_1) | instid1(VALU_DEP_2)
	v_add_co_u32 v3, vcc_lo, v3, v20
	s_wait_alu 0xfffd
	v_add_co_ci_u32_e32 v3, vcc_lo, v12, v21, vcc_lo
	s_wait_alu 0xfffd
	v_add_co_ci_u32_e32 v12, vcc_lo, 0, v23, vcc_lo
	s_delay_alu instid0(VALU_DEP_2) | instskip(SKIP_1) | instid1(VALU_DEP_2)
	v_add_co_u32 v3, vcc_lo, v3, v22
	s_wait_alu 0xfffd
	v_add_co_ci_u32_e64 v20, null, 0, v12, vcc_lo
	s_delay_alu instid0(VALU_DEP_2) | instskip(SKIP_1) | instid1(VALU_DEP_3)
	v_mul_lo_u32 v21, s29, v3
	v_mad_co_u64_u32 v[12:13], null, s28, v3, 0
	v_mul_lo_u32 v22, s28, v20
	s_delay_alu instid0(VALU_DEP_2) | instskip(NEXT) | instid1(VALU_DEP_2)
	v_sub_co_u32 v12, vcc_lo, v18, v12
	v_add3_u32 v13, v13, v22, v21
	s_delay_alu instid0(VALU_DEP_1) | instskip(SKIP_2) | instid1(VALU_DEP_2)
	v_sub_nc_u32_e32 v21, v19, v13
	s_wait_alu 0xfffd
	v_sub_co_ci_u32_e64 v13, null, v19, v13, vcc_lo
	v_subrev_co_ci_u32_e64 v18, null, s29, v21, vcc_lo
	v_add_co_u32 v21, s0, v3, 2
	s_wait_alu 0xf1ff
	v_add_co_ci_u32_e64 v22, null, 0, v20, s0
	v_sub_co_u32 v23, s0, v12, s28
	s_wait_alu 0xf1ff
	v_subrev_co_ci_u32_e64 v18, null, 0, v18, s0
	v_cmp_eq_u32_e64 s0, s29, v13
	s_delay_alu instid0(VALU_DEP_3)
	v_cmp_le_u32_e32 vcc_lo, s28, v23
	s_wait_alu 0xfffd
	v_cndmask_b32_e64 v19, 0, -1, vcc_lo
	v_cmp_le_u32_e32 vcc_lo, s29, v18
	s_wait_alu 0xfffd
	v_cndmask_b32_e64 v23, 0, -1, vcc_lo
	;; [unrolled: 3-line block ×4, first 2 shown]
	v_cmp_eq_u32_e32 vcc_lo, s29, v18
	s_wait_alu 0xf1ff
	s_delay_alu instid0(VALU_DEP_2)
	v_cndmask_b32_e64 v12, v24, v12, s0
	s_wait_alu 0xfffd
	v_cndmask_b32_e32 v18, v23, v19, vcc_lo
	v_add_co_u32 v19, vcc_lo, v3, 1
	s_wait_alu 0xfffd
	v_add_co_ci_u32_e64 v23, null, 0, v20, vcc_lo
	s_delay_alu instid0(VALU_DEP_3) | instskip(SKIP_1) | instid1(VALU_DEP_2)
	v_cmp_ne_u32_e32 vcc_lo, 0, v18
	s_wait_alu 0xfffd
	v_cndmask_b32_e32 v13, v23, v22, vcc_lo
	v_cndmask_b32_e32 v18, v19, v21, vcc_lo
	v_cmp_ne_u32_e32 vcc_lo, 0, v12
	s_wait_alu 0xfffd
	s_delay_alu instid0(VALU_DEP_2)
	v_dual_cndmask_b32 v13, v20, v13 :: v_dual_cndmask_b32 v12, v3, v18
                                        ; implicit-def: $vgpr18
.LBB7_18:                               ;   in Loop: Header=BB7_4 Depth=1
	s_wait_alu 0xfffe
	s_and_not1_saveexec_b32 s0, s1
	s_cbranch_execz .LBB7_20
; %bb.19:                               ;   in Loop: Header=BB7_4 Depth=1
	v_cvt_f32_u32_e32 v3, s28
	s_sub_co_i32 s1, 0, s28
	s_delay_alu instid0(VALU_DEP_1) | instskip(NEXT) | instid1(TRANS32_DEP_1)
	v_rcp_iflag_f32_e32 v3, v3
	v_mul_f32_e32 v3, 0x4f7ffffe, v3
	s_delay_alu instid0(VALU_DEP_1) | instskip(SKIP_1) | instid1(VALU_DEP_1)
	v_cvt_u32_f32_e32 v3, v3
	s_wait_alu 0xfffe
	v_mul_lo_u32 v12, s1, v3
	s_delay_alu instid0(VALU_DEP_1) | instskip(NEXT) | instid1(VALU_DEP_1)
	v_mul_hi_u32 v12, v3, v12
	v_add_nc_u32_e32 v3, v3, v12
	s_delay_alu instid0(VALU_DEP_1) | instskip(NEXT) | instid1(VALU_DEP_1)
	v_mul_hi_u32 v3, v18, v3
	v_mul_lo_u32 v12, v3, s28
	v_add_nc_u32_e32 v13, 1, v3
	s_delay_alu instid0(VALU_DEP_2) | instskip(NEXT) | instid1(VALU_DEP_1)
	v_sub_nc_u32_e32 v12, v18, v12
	v_subrev_nc_u32_e32 v18, s28, v12
	v_cmp_le_u32_e32 vcc_lo, s28, v12
	s_wait_alu 0xfffd
	s_delay_alu instid0(VALU_DEP_2) | instskip(NEXT) | instid1(VALU_DEP_1)
	v_dual_cndmask_b32 v12, v12, v18 :: v_dual_cndmask_b32 v3, v3, v13
	v_cmp_le_u32_e32 vcc_lo, s28, v12
	s_delay_alu instid0(VALU_DEP_2) | instskip(SKIP_1) | instid1(VALU_DEP_1)
	v_add_nc_u32_e32 v13, 1, v3
	s_wait_alu 0xfffd
	v_dual_cndmask_b32 v12, v3, v13 :: v_dual_mov_b32 v13, v2
.LBB7_20:                               ;   in Loop: Header=BB7_4 Depth=1
	s_wait_alu 0xfffe
	s_or_b32 exec_lo, exec_lo, s0
	v_add_co_u32 v3, vcc_lo, v10, v14
	s_wait_alu 0xfffd
	v_add_co_ci_u32_e64 v10, null, 0, v11, vcc_lo
	v_add_co_u32 v11, vcc_lo, v12, v17
	s_wait_alu 0xfffd
	v_add_co_ci_u32_e64 v12, null, 0, v13, vcc_lo
	v_mul_lo_u32 v14, v3, s7
	v_mul_lo_u32 v13, v10, s6
	v_mad_co_u64_u32 v[9:10], null, v3, s6, v[8:9]
	v_mul_lo_u32 v3, v11, s9
	v_mul_lo_u32 v17, v12, s8
	v_mad_co_u64_u32 v[11:12], null, v11, s8, v[6:7]
	s_mov_b32 s37, exec_lo
	v_add3_u32 v7, v13, v10, v14
	v_add3_u32 v12, v17, v12, v3
	v_add_nc_u32_e32 v3, s49, v8
	s_delay_alu instid0(VALU_DEP_3) | instskip(NEXT) | instid1(VALU_DEP_3)
	v_mul_lo_u32 v10, v7, s18
	v_mad_co_u64_u32 v[7:8], null, v9, s18, v[11:12]
	v_mul_lo_u32 v12, v9, s19
	s_delay_alu instid0(VALU_DEP_1) | instskip(SKIP_2) | instid1(VALU_DEP_1)
	v_add3_u32 v8, v10, v8, v12
	v_mov_b32_e32 v10, 0xff800000
	v_min_i32_e32 v17, s16, v3
	v_cmpx_gt_i32_e64 v17, v9
	s_cbranch_execz .LBB7_3
; %bb.21:                               ;   in Loop: Header=BB7_4 Depth=1
	v_mad_co_u64_u32 v[13:14], null, s30, v4, s[14:15]
	v_mul_lo_u32 v5, s30, v5
	v_mul_lo_u32 v4, s31, v4
	v_dual_mov_b32 v10, 0xff800000 :: v_dual_add_nc_u32 v3, s50, v6
	s_mov_b32 s38, 0
	s_delay_alu instid0(VALU_DEP_1) | instskip(SKIP_1) | instid1(VALU_DEP_4)
	v_min_i32_e32 v18, s18, v3
	v_ashrrev_i32_e32 v3, 31, v9
	v_add3_u32 v14, v4, v14, v5
	s_delay_alu instid0(VALU_DEP_3)
	v_cmp_gt_i32_e32 vcc_lo, v18, v11
	s_branch .LBB7_23
.LBB7_22:                               ;   in Loop: Header=BB7_23 Depth=2
	s_wait_alu 0xfffe
	s_or_b32 exec_lo, exec_lo, s39
	v_add_nc_u32_e32 v9, s24, v9
	s_delay_alu instid0(VALU_DEP_1)
	v_cmp_ge_i32_e64 s0, v9, v17
	v_ashrrev_i32_e32 v3, 31, v9
	s_or_b32 s38, s0, s38
	s_wait_alu 0xfffe
	s_and_not1_b32 exec_lo, exec_lo, s38
	s_cbranch_execz .LBB7_2
.LBB7_23:                               ;   Parent Loop BB7_4 Depth=1
                                        ; =>  This Loop Header: Depth=2
                                        ;       Child Loop BB7_25 Depth 3
	s_and_saveexec_b32 s39, vcc_lo
	s_cbranch_execz .LBB7_22
; %bb.24:                               ;   in Loop: Header=BB7_23 Depth=2
	v_ashrrev_i32_e32 v12, 31, v11
	v_mul_lo_u32 v5, v9, s19
	v_mul_lo_u32 v6, v3, s18
	s_mov_b32 s40, 0
	s_delay_alu instid0(VALU_DEP_3) | instskip(SKIP_1) | instid1(VALU_DEP_2)
	v_mad_co_u64_u32 v[3:4], null, v9, s18, v[11:12]
	v_mov_b32_e32 v12, v11
	v_add3_u32 v4, v6, v4, v5
	s_delay_alu instid0(VALU_DEP_1) | instskip(NEXT) | instid1(VALU_DEP_1)
	v_lshlrev_b64_e32 v[5:6], 2, v[3:4]
	v_add_co_u32 v5, s0, v13, v5
	s_wait_alu 0xf1ff
	s_delay_alu instid0(VALU_DEP_2)
	v_add_co_ci_u32_e64 v6, null, v14, v6, s0
.LBB7_25:                               ;   Parent Loop BB7_4 Depth=1
                                        ;     Parent Loop BB7_23 Depth=2
                                        ; =>    This Inner Loop Header: Depth=3
	global_load_b32 v19, v[5:6], off
	v_add_nc_u32_e32 v12, s25, v12
	v_add_co_u32 v5, s0, v5, s34
	s_wait_alu 0xf1ff
	v_add_co_ci_u32_e64 v6, null, s35, v6, s0
	s_delay_alu instid0(VALU_DEP_3)
	v_cmp_ge_i32_e64 s0, v12, v18
	s_wait_loadcnt 0x0
	v_cmp_gt_f32_e64 s1, v19, v10
	v_cmp_u_f32_e64 s2, v19, v19
	s_or_b32 s1, s1, s2
	s_wait_alu 0xfffe
	s_or_b32 s40, s0, s40
	v_cndmask_b32_e64 v10, v10, v19, s1
	v_cndmask_b32_e64 v8, v8, v4, s1
	;; [unrolled: 1-line block ×3, first 2 shown]
	v_add_co_u32 v3, s1, v3, s8
	s_wait_alu 0xf1ff
	v_add_co_ci_u32_e64 v4, null, s9, v4, s1
	s_wait_alu 0xfffe
	s_and_not1_b32 exec_lo, exec_lo, s40
	s_cbranch_execnz .LBB7_25
; %bb.26:                               ;   in Loop: Header=BB7_23 Depth=2
	s_or_b32 exec_lo, exec_lo, s40
	s_branch .LBB7_22
.LBB7_27:
	s_endpgm
	.section	.rodata,"a",@progbits
	.p2align	6, 0x0
	.amdhsa_kernel _ZN2at6native12_GLOBAL__N_121max_pool_forward_nchwIflEEvT0_PKT_llliiiiiiiiiiPS4_Pl
		.amdhsa_group_segment_fixed_size 0
		.amdhsa_private_segment_fixed_size 0
		.amdhsa_kernarg_size 352
		.amdhsa_user_sgpr_count 2
		.amdhsa_user_sgpr_dispatch_ptr 0
		.amdhsa_user_sgpr_queue_ptr 0
		.amdhsa_user_sgpr_kernarg_segment_ptr 1
		.amdhsa_user_sgpr_dispatch_id 0
		.amdhsa_user_sgpr_private_segment_size 0
		.amdhsa_wavefront_size32 1
		.amdhsa_uses_dynamic_stack 0
		.amdhsa_enable_private_segment 0
		.amdhsa_system_sgpr_workgroup_id_x 1
		.amdhsa_system_sgpr_workgroup_id_y 0
		.amdhsa_system_sgpr_workgroup_id_z 0
		.amdhsa_system_sgpr_workgroup_info 0
		.amdhsa_system_vgpr_workitem_id 0
		.amdhsa_next_free_vgpr 25
		.amdhsa_next_free_sgpr 60
		.amdhsa_reserve_vcc 1
		.amdhsa_float_round_mode_32 0
		.amdhsa_float_round_mode_16_64 0
		.amdhsa_float_denorm_mode_32 3
		.amdhsa_float_denorm_mode_16_64 3
		.amdhsa_fp16_overflow 0
		.amdhsa_workgroup_processor_mode 1
		.amdhsa_memory_ordered 1
		.amdhsa_forward_progress 1
		.amdhsa_inst_pref_size 40
		.amdhsa_round_robin_scheduling 0
		.amdhsa_exception_fp_ieee_invalid_op 0
		.amdhsa_exception_fp_denorm_src 0
		.amdhsa_exception_fp_ieee_div_zero 0
		.amdhsa_exception_fp_ieee_overflow 0
		.amdhsa_exception_fp_ieee_underflow 0
		.amdhsa_exception_fp_ieee_inexact 0
		.amdhsa_exception_int_div_zero 0
	.end_amdhsa_kernel
	.section	.text._ZN2at6native12_GLOBAL__N_121max_pool_forward_nchwIflEEvT0_PKT_llliiiiiiiiiiPS4_Pl,"axG",@progbits,_ZN2at6native12_GLOBAL__N_121max_pool_forward_nchwIflEEvT0_PKT_llliiiiiiiiiiPS4_Pl,comdat
.Lfunc_end7:
	.size	_ZN2at6native12_GLOBAL__N_121max_pool_forward_nchwIflEEvT0_PKT_llliiiiiiiiiiPS4_Pl, .Lfunc_end7-_ZN2at6native12_GLOBAL__N_121max_pool_forward_nchwIflEEvT0_PKT_llliiiiiiiiiiPS4_Pl
                                        ; -- End function
	.set _ZN2at6native12_GLOBAL__N_121max_pool_forward_nchwIflEEvT0_PKT_llliiiiiiiiiiPS4_Pl.num_vgpr, 25
	.set _ZN2at6native12_GLOBAL__N_121max_pool_forward_nchwIflEEvT0_PKT_llliiiiiiiiiiPS4_Pl.num_agpr, 0
	.set _ZN2at6native12_GLOBAL__N_121max_pool_forward_nchwIflEEvT0_PKT_llliiiiiiiiiiPS4_Pl.numbered_sgpr, 60
	.set _ZN2at6native12_GLOBAL__N_121max_pool_forward_nchwIflEEvT0_PKT_llliiiiiiiiiiPS4_Pl.num_named_barrier, 0
	.set _ZN2at6native12_GLOBAL__N_121max_pool_forward_nchwIflEEvT0_PKT_llliiiiiiiiiiPS4_Pl.private_seg_size, 0
	.set _ZN2at6native12_GLOBAL__N_121max_pool_forward_nchwIflEEvT0_PKT_llliiiiiiiiiiPS4_Pl.uses_vcc, 1
	.set _ZN2at6native12_GLOBAL__N_121max_pool_forward_nchwIflEEvT0_PKT_llliiiiiiiiiiPS4_Pl.uses_flat_scratch, 0
	.set _ZN2at6native12_GLOBAL__N_121max_pool_forward_nchwIflEEvT0_PKT_llliiiiiiiiiiPS4_Pl.has_dyn_sized_stack, 0
	.set _ZN2at6native12_GLOBAL__N_121max_pool_forward_nchwIflEEvT0_PKT_llliiiiiiiiiiPS4_Pl.has_recursion, 0
	.set _ZN2at6native12_GLOBAL__N_121max_pool_forward_nchwIflEEvT0_PKT_llliiiiiiiiiiPS4_Pl.has_indirect_call, 0
	.section	.AMDGPU.csdata,"",@progbits
; Kernel info:
; codeLenInByte = 5084
; TotalNumSgprs: 62
; NumVgprs: 25
; ScratchSize: 0
; MemoryBound: 0
; FloatMode: 240
; IeeeMode: 1
; LDSByteSize: 0 bytes/workgroup (compile time only)
; SGPRBlocks: 0
; VGPRBlocks: 3
; NumSGPRsForWavesPerEU: 62
; NumVGPRsForWavesPerEU: 25
; Occupancy: 16
; WaveLimiterHint : 0
; COMPUTE_PGM_RSRC2:SCRATCH_EN: 0
; COMPUTE_PGM_RSRC2:USER_SGPR: 2
; COMPUTE_PGM_RSRC2:TRAP_HANDLER: 0
; COMPUTE_PGM_RSRC2:TGID_X_EN: 1
; COMPUTE_PGM_RSRC2:TGID_Y_EN: 0
; COMPUTE_PGM_RSRC2:TGID_Z_EN: 0
; COMPUTE_PGM_RSRC2:TIDIG_COMP_CNT: 0
	.section	.text._ZN2at6native12_GLOBAL__N_121max_pool_forward_nhwcIN3c104HalfEiEEvPKT_iT0_S8_S8_S8_S8_iiiiiiiiS8_S8_S8_S8_iiPS5_Pl,"axG",@progbits,_ZN2at6native12_GLOBAL__N_121max_pool_forward_nhwcIN3c104HalfEiEEvPKT_iT0_S8_S8_S8_S8_iiiiiiiiS8_S8_S8_S8_iiPS5_Pl,comdat
	.globl	_ZN2at6native12_GLOBAL__N_121max_pool_forward_nhwcIN3c104HalfEiEEvPKT_iT0_S8_S8_S8_S8_iiiiiiiiS8_S8_S8_S8_iiPS5_Pl ; -- Begin function _ZN2at6native12_GLOBAL__N_121max_pool_forward_nhwcIN3c104HalfEiEEvPKT_iT0_S8_S8_S8_S8_iiiiiiiiS8_S8_S8_S8_iiPS5_Pl
	.p2align	8
	.type	_ZN2at6native12_GLOBAL__N_121max_pool_forward_nhwcIN3c104HalfEiEEvPKT_iT0_S8_S8_S8_S8_iiiiiiiiS8_S8_S8_S8_iiPS5_Pl,@function
_ZN2at6native12_GLOBAL__N_121max_pool_forward_nhwcIN3c104HalfEiEEvPKT_iT0_S8_S8_S8_S8_iiiiiiiiS8_S8_S8_S8_iiPS5_Pl: ; @_ZN2at6native12_GLOBAL__N_121max_pool_forward_nhwcIN3c104HalfEiEEvPKT_iT0_S8_S8_S8_S8_iiiiiiiiS8_S8_S8_S8_iiPS5_Pl
; %bb.0:
	s_clause 0x1
	s_load_b128 s[4:7], s[0:1], 0x6c
	s_load_b128 s[24:27], s[0:1], 0x48
	v_bfe_u32 v3, v0, 10, 10
	v_bfe_u32 v1, v0, 20, 10
	v_and_b32_e32 v6, 0x3ff, v0
	s_mov_b32 s3, exec_lo
	s_wait_kmcnt 0x0
	s_lshr_b32 s30, s6, 16
	s_and_b32 s37, s6, 0xffff
	v_mad_u32_u24 v7, v1, s30, v3
	s_mul_i32 s6, s27, s37
	s_and_b32 s31, s7, 0xffff
	s_mul_i32 s2, s6, s30
	s_wait_alu 0xfffe
	s_mul_i32 s2, s2, s31
	v_mad_co_u64_u32 v[4:5], null, v7, s37, v[6:7]
	s_delay_alu instid0(VALU_DEP_1)
	v_cmpx_gt_u32_e64 s2, v4
	s_cbranch_execz .LBB8_3
; %bb.1:
	v_dual_mov_b32 v5, 0xfffffc00 :: v_dual_lshlrev_b32 v2, 1, v4
	s_lshl_b32 s8, s2, 2
	s_mul_i32 s7, s30, s37
	v_lshl_add_u32 v0, v4, 2, 0
	s_delay_alu instid0(VALU_DEP_2)
	v_add3_u32 v2, 0, s8, v2
	v_mov_b32_e32 v8, 0
	s_mul_i32 s7, s7, s31
	s_mov_b32 s8, 0
	s_lshl_b32 s9, s7, 1
	s_lshl_b32 s10, s7, 2
.LBB8_2:                                ; =>This Inner Loop Header: Depth=1
	v_add_nc_u32_e32 v4, s7, v4
	ds_store_b16 v2, v5
	ds_store_b32 v0, v8
	s_wait_alu 0xfffe
	v_add_nc_u32_e32 v2, s9, v2
	v_add_nc_u32_e32 v0, s10, v0
	v_cmp_le_u32_e32 vcc_lo, s2, v4
	s_or_b32 s8, vcc_lo, s8
	s_wait_alu 0xfffe
	s_and_not1_b32 exec_lo, exec_lo, s8
	s_cbranch_execnz .LBB8_2
.LBB8_3:
	s_or_b32 exec_lo, exec_lo, s3
	s_cvt_f32_u32 s3, s5
	s_load_b512 s[8:23], s[0:1], 0x8
	s_sub_co_i32 s7, 0, s5
	s_wait_dscnt 0x0
	v_rcp_iflag_f32_e32 v0, s3
	s_barrier_signal -1
	s_barrier_wait -1
	global_inv scope:SCOPE_SE
	v_readfirstlane_b32 s3, v0
	s_mul_f32 s3, s3, 0x4f7ffffe
	s_wait_kmcnt 0x0
	s_add_co_i32 s28, s12, s5
	s_delay_alu instid0(SALU_CYCLE_1) | instskip(SKIP_3) | instid1(SALU_CYCLE_2)
	s_add_co_i32 s28, s28, -1
	s_wait_alu 0xfffe
	s_cvt_u32_f32 s3, s3
	s_wait_alu 0xfffe
	s_mul_i32 s7, s7, s3
	s_wait_alu 0xfffe
	s_mul_hi_u32 s7, s3, s7
	s_wait_alu 0xfffe
	s_add_co_i32 s3, s3, s7
	s_wait_alu 0xfffe
	s_mul_hi_u32 s3, s28, s3
	s_wait_alu 0xfffe
	s_mul_i32 s7, s3, s5
	s_wait_alu 0xfffe
	s_sub_co_i32 s7, s28, s7
	s_add_co_i32 s28, s3, 1
	s_wait_alu 0xfffe
	s_sub_co_i32 s29, s7, s5
	s_cmp_ge_u32 s7, s5
	s_cselect_b32 s3, s28, s3
	s_cselect_b32 s7, s29, s7
	s_wait_alu 0xfffe
	s_add_co_i32 s28, s3, 1
	s_cmp_ge_u32 s7, s5
	s_cvt_f32_u32 s7, s4
	s_cselect_b32 s3, s28, s3
	s_lshr_b32 s5, ttmp7, 16
	s_mov_b32 s29, 0
	s_wait_alu 0xfffe
	v_mad_co_u64_u32 v[0:1], null, s3, s5, v[1:2]
	s_cvt_f32_u32 s5, s8
	v_rcp_iflag_f32_e32 v2, s7
	s_mov_b32 s7, exec_lo
	s_wait_alu 0xfffe
	v_rcp_iflag_f32_e32 v1, s5
	v_add_nc_u32_e32 v4, s3, v0
	s_delay_alu instid0(TRANS32_DEP_2) | instskip(NEXT) | instid1(VALU_DEP_2)
	v_readfirstlane_b32 s3, v2
	v_min_i32_e32 v14, s12, v4
	s_delay_alu instid0(TRANS32_DEP_1) | instskip(NEXT) | instid1(VALU_DEP_2)
	v_readfirstlane_b32 s5, v1
	v_cmpx_lt_i32_e64 v0, v14
	s_cbranch_execz .LBB8_74
; %bb.4:
	s_mul_f32 s5, s5, 0x4f7ffffe
	s_mul_f32 s3, s3, 0x4f7ffffe
	s_sub_co_i32 s33, 0, s8
	s_sub_co_i32 s38, 0, s4
	s_wait_alu 0xfffe
	s_cvt_u32_f32 s5, s5
	s_cvt_u32_f32 s3, s3
	s_mov_b32 s28, ttmp9
	s_mov_b32 s35, s29
	s_wait_alu 0xfffe
	s_mul_i32 s33, s33, s5
	s_mul_i32 s38, s38, s3
	s_mul_hi_u32 s33, s5, s33
	s_lshl_b32 s2, s2, 2
	s_add_co_i32 s34, s5, s33
	s_mul_hi_u32 s5, s3, s38
	s_mul_u64 s[34:35], s[28:29], s[34:35]
	s_wait_alu 0xfffe
	s_add_co_i32 s42, s2, 0
	s_add_co_i32 s2, s3, s5
	s_mul_i32 s3, s35, s8
	s_add_co_i32 s36, s13, s4
	s_wait_alu 0xfffe
	s_sub_co_i32 s5, ttmp9, s3
	s_and_b32 s7, ttmp7, 0xffff
	s_add_co_i32 s28, s36, -1
	s_add_co_i32 s33, s35, 1
	s_wait_alu 0xfffe
	s_sub_co_i32 s34, s5, s8
	s_cmp_ge_u32 s5, s8
	s_mov_b32 s3, s29
	s_cselect_b32 s33, s33, s35
	s_cselect_b32 s5, s34, s5
	s_add_co_i32 s36, s33, 1
	s_wait_alu 0xfffe
	s_cmp_ge_u32 s5, s8
	s_mul_i32 s12, s12, s9
	s_cselect_b32 s5, s36, s33
	s_wait_alu 0xfffe
	s_mul_i32 s12, s12, s13
	s_mul_i32 s8, s5, s8
	s_mul_u64 s[38:39], s[28:29], s[2:3]
	s_wait_alu 0xfffe
	s_sub_co_i32 s8, ttmp9, s8
	v_mad_co_u64_u32 v[1:2], null, s5, s37, v[6:7]
	s_wait_alu 0xfffe
	s_mul_i32 s2, s12, s8
	s_mul_i32 s40, s8, s22
	;; [unrolled: 1-line block ×3, first 2 shown]
	s_ashr_i32 s41, s40, 31
	s_wait_alu 0xfffe
	s_sub_co_i32 s8, s28, s8
	s_ashr_i32 s3, s2, 31
	s_lshl_b64 s[40:41], s[40:41], 1
	s_add_co_i32 s12, s39, 1
	s_wait_alu 0xfffe
	s_sub_co_i32 s22, s8, s4
	s_cmp_ge_u32 s8, s4
	s_load_b64 s[34:35], s[0:1], 0x0
	s_cselect_b32 s5, s12, s39
	s_cselect_b32 s8, s22, s8
	s_wait_alu 0xfffe
	s_add_co_i32 s12, s5, 1
	s_cmp_ge_u32 s8, s4
	v_lshlrev_b32_e32 v12, 1, v7
	s_wait_alu 0xfffe
	s_cselect_b32 s4, s12, s5
	s_add_co_i32 s5, s14, -1
	s_wait_alu 0xfffe
	v_mad_co_u64_u32 v[3:4], null, s4, s7, v[3:4]
	s_mul_i32 s8, s20, s5
	s_add_co_i32 s5, s15, -1
	s_wait_alu 0xfffe
	s_add_co_i32 s8, s8, 1
	s_mul_i32 s28, s21, s5
	s_max_i32 s5, s14, s15
	s_add_co_i32 s28, s28, 1
	s_wait_alu 0xfffe
	s_cmp_lt_i32 s5, 4
	s_mul_i32 s12, s26, s37
	v_mul_lo_u32 v4, v1, s23
	s_cselect_b32 s22, -1, 0
	s_wait_alu 0xfffe
	s_cmp_le_u32 s9, s12
	v_dual_mov_b32 v26, 0xfffffc00 :: v_dual_add_nc_u32 v5, s4, v3
	s_cselect_b32 s33, -1, 0
	s_max_u32 s26, s20, 1
	s_and_b32 s33, s22, s33
	s_cvt_f32_u32 s36, s26
	v_min_i32_e32 v15, s13, v5
	v_ashrrev_i32_e32 v5, 31, v4
	s_mul_i32 s22, s30, s31
	s_wait_alu 0xfffe
	v_rcp_iflag_f32_e32 v10, s36
	v_mul_lo_u32 v2, s6, v7
	v_mul_lo_u32 v7, s27, v7
	v_lshlrev_b64_e32 v[8:9], 1, v[4:5]
	v_lshl_add_u32 v5, s22, 2, v12
	s_load_b128 s[4:7], s[0:1], 0x58
	s_wait_kmcnt 0x0
	s_add_nc_u64 s[14:15], s[34:35], s[40:41]
	v_mov_b32_e32 v27, 0
	s_mul_i32 s35, s12, s23
	v_mul_lo_u32 v5, s27, v5
	v_readfirstlane_b32 s34, v10
	v_mul_lo_u32 v7, v7, s37
	v_lshlrev_b32_e32 v11, 1, v2
	v_lshlrev_b32_e32 v2, 2, v2
	v_add_co_u32 v16, vcc_lo, s14, v8
	s_mul_f32 s22, s34, 0x4f7ffffe
	v_lshlrev_b32_e32 v8, 1, v6
	v_lshlrev_b32_e32 v6, 2, v6
	v_mul_lo_u32 v5, v5, s37
	s_wait_alu 0xfffe
	s_cvt_u32_f32 s22, s22
	v_lshlrev_b32_e32 v7, 2, v7
	s_sub_co_i32 s34, 0, s26
	v_add3_u32 v19, 0, v2, v6
	v_ashrrev_i32_e32 v2, 31, v1
	s_wait_alu 0xfffe
	s_mul_i32 s34, s34, s22
	v_add3_u32 v21, v7, v6, 0
	s_mul_hi_u32 s34, s22, s34
	v_add3_u32 v20, v5, v8, 0
	v_lshlrev_b64_e32 v[5:6], 1, v[1:2]
	s_add_co_i32 s34, s22, s34
	s_lshl_b64 s[22:23], s[2:3], 1
	v_add3_u32 v18, s42, v11, v8
	s_wait_alu 0xfffe
	s_add_nc_u64 s[4:5], s[4:5], s[22:23]
	v_mad_co_u64_u32 v[7:8], null, s13, v0, v[3:4]
	v_add_co_ci_u32_e64 v17, null, s15, v9, vcc_lo
	s_wait_alu 0xfffe
	v_add_co_u32 v22, vcc_lo, s4, v5
	s_wait_alu 0xfffd
	v_add_co_ci_u32_e64 v23, null, s5, v6, vcc_lo
	v_lshlrev_b64_e32 v[5:6], 3, v[1:2]
	s_lshl_b64 s[2:3], s[2:3], 3
	v_mul_lo_u32 v24, s9, v7
	s_wait_alu 0xfffe
	s_add_nc_u64 s[2:3], s[6:7], s[2:3]
	v_cmp_lt_i32_e64 s0, v3, v15
	v_cmp_gt_i32_e64 s1, s9, v1
	s_wait_alu 0xfffe
	v_add_co_u32 v2, vcc_lo, s2, v5
	s_wait_alu 0xfffd
	v_add_co_ci_u32_e64 v25, null, s3, v6, vcc_lo
	s_mul_i32 s38, s13, s9
	s_ashr_i32 s13, s12, 31
	s_lshl_b32 s27, s21, 1
	s_lshl_b32 s36, s37, 1
	;; [unrolled: 1-line block ×3, first 2 shown]
	s_mul_i32 s38, s38, s31
	s_mul_i32 s39, s9, s30
	s_wait_alu 0xfffe
	s_lshl_b64 s[6:7], s[12:13], 1
	s_lshl_b64 s[22:23], s[12:13], 3
	s_branch .LBB8_6
.LBB8_5:                                ;   in Loop: Header=BB8_6 Depth=1
	s_wait_alu 0xfffe
	s_or_b32 exec_lo, exec_lo, s13
	v_add_nc_u32_e32 v0, s31, v0
	v_add_nc_u32_e32 v24, s38, v24
	s_delay_alu instid0(VALU_DEP_2)
	v_cmp_ge_i32_e32 vcc_lo, v0, v14
	s_or_b32 s29, vcc_lo, s29
	s_wait_alu 0xfffe
	s_and_not1_b32 exec_lo, exec_lo, s29
	s_cbranch_execz .LBB8_74
.LBB8_6:                                ; =>This Loop Header: Depth=1
                                        ;     Child Loop BB8_9 Depth 2
                                        ;       Child Loop BB8_10 Depth 3
                                        ;       Child Loop BB8_63 Depth 3
                                        ;         Child Loop BB8_66 Depth 4
                                        ;           Child Loop BB8_69 Depth 5
                                        ;       Child Loop BB8_73 Depth 3
	s_and_saveexec_b32 s13, s0
	s_cbranch_execz .LBB8_5
; %bb.7:                                ;   in Loop: Header=BB8_6 Depth=1
	v_mul_lo_u32 v5, v0, s16
	v_mov_b32_e32 v29, v3
	s_mov_b32 s40, 0
	v_mov_b32_e32 v7, v24
	s_delay_alu instid0(VALU_DEP_3) | instskip(NEXT) | instid1(VALU_DEP_1)
	v_subrev_nc_u32_e32 v5, s18, v5
	v_add_nc_u32_e32 v6, s8, v5
	s_delay_alu instid0(VALU_DEP_1)
	v_min_i32_e32 v28, s10, v6
	s_branch .LBB8_9
.LBB8_8:                                ;   in Loop: Header=BB8_9 Depth=2
	s_wait_alu 0xfffe
	s_or_b32 exec_lo, exec_lo, s3
	v_add_nc_u32_e32 v29, s30, v29
	v_add_nc_u32_e32 v7, s39, v7
	s_delay_alu instid0(VALU_DEP_2) | instskip(SKIP_1) | instid1(SALU_CYCLE_1)
	v_cmp_ge_i32_e32 vcc_lo, v29, v15
	s_or_b32 s40, vcc_lo, s40
	s_and_not1_b32 exec_lo, exec_lo, s40
	s_cbranch_execz .LBB8_5
.LBB8_9:                                ;   Parent Loop BB8_6 Depth=1
                                        ; =>  This Loop Header: Depth=2
                                        ;       Child Loop BB8_10 Depth 3
                                        ;       Child Loop BB8_63 Depth 3
                                        ;         Child Loop BB8_66 Depth 4
                                        ;           Child Loop BB8_69 Depth 5
                                        ;       Child Loop BB8_73 Depth 3
	v_mul_lo_u32 v6, v29, s17
	s_mov_b32 s2, 0
	s_wait_loadcnt 0x0
	s_delay_alu instid0(VALU_DEP_1) | instskip(NEXT) | instid1(VALU_DEP_1)
	v_subrev_nc_u32_e32 v8, s19, v6
	v_mov_b32_e32 v31, v8
.LBB8_10:                               ;   Parent Loop BB8_6 Depth=1
                                        ;     Parent Loop BB8_9 Depth=2
                                        ; =>    This Inner Loop Header: Depth=3
	s_delay_alu instid0(VALU_DEP_1) | instskip(NEXT) | instid1(VALU_DEP_1)
	v_mov_b32_e32 v30, v31
	v_cmp_lt_i32_e32 vcc_lo, -1, v30
	v_add_nc_u32_e32 v31, s21, v30
	s_wait_alu 0xfffe
	s_or_b32 s2, vcc_lo, s2
	s_wait_alu 0xfffe
	s_and_not1_b32 exec_lo, exec_lo, s2
	s_cbranch_execnz .LBB8_10
; %bb.11:                               ;   in Loop: Header=BB8_9 Depth=2
	s_or_b32 exec_lo, exec_lo, s2
	v_lshrrev_b32_e32 v6, 31, v5
	v_max_i32_e32 v9, 0, v5
	s_mov_b32 s2, -1
	s_delay_alu instid0(VALU_DEP_2) | instskip(NEXT) | instid1(VALU_DEP_1)
	v_add_nc_u32_e32 v10, v5, v6
	v_sub_nc_u32_e32 v9, v9, v10
	s_delay_alu instid0(VALU_DEP_1) | instskip(NEXT) | instid1(VALU_DEP_1)
	v_mul_hi_u32 v10, v9, s34
	v_mul_lo_u32 v11, v10, s26
	s_delay_alu instid0(VALU_DEP_1) | instskip(SKIP_1) | instid1(VALU_DEP_2)
	v_sub_nc_u32_e32 v9, v9, v11
	v_add_nc_u32_e32 v11, 1, v10
	v_subrev_nc_u32_e32 v12, s26, v9
	v_cmp_le_u32_e32 vcc_lo, s26, v9
	s_wait_alu 0xfffd
	s_delay_alu instid0(VALU_DEP_2) | instskip(NEXT) | instid1(VALU_DEP_1)
	v_dual_cndmask_b32 v10, v10, v11 :: v_dual_cndmask_b32 v9, v9, v12
	v_add_nc_u32_e32 v11, 1, v10
	s_delay_alu instid0(VALU_DEP_2) | instskip(SKIP_1) | instid1(VALU_DEP_2)
	v_cmp_le_u32_e32 vcc_lo, s26, v9
	s_wait_alu 0xfffd
	v_cndmask_b32_e32 v9, v10, v11, vcc_lo
	s_and_b32 vcc_lo, exec_lo, s33
	s_delay_alu instid0(VALU_DEP_1) | instskip(NEXT) | instid1(VALU_DEP_1)
	v_add_nc_u32_e32 v6, v6, v9
	v_mad_co_u64_u32 v[5:6], null, s20, v6, v[5:6]
	v_add_nc_u32_e32 v6, s28, v8
	s_delay_alu instid0(VALU_DEP_1) | instskip(NEXT) | instid1(VALU_DEP_3)
	v_min_i32_e32 v6, s11, v6
	v_cmp_lt_i32_e64 s4, v5, v28
	s_wait_alu 0xfffe
	s_cbranch_vccnz .LBB8_14
; %bb.12:                               ;   in Loop: Header=BB8_9 Depth=2
	s_and_b32 vcc_lo, exec_lo, s2
	s_wait_alu 0xfffe
	s_cbranch_vccnz .LBB8_60
.LBB8_13:                               ;   in Loop: Header=BB8_9 Depth=2
	s_and_saveexec_b32 s3, s1
	s_cbranch_execz .LBB8_8
	s_branch .LBB8_72
.LBB8_14:                               ;   in Loop: Header=BB8_9 Depth=2
	v_mul_lo_u32 v9, v5, s24
	v_mul_lo_u32 v8, v30, s25
	v_cmp_lt_i32_e32 vcc_lo, v30, v6
	v_mov_b32_e32 v33, 0
	v_mov_b32_e32 v35, 0
	v_ashrrev_i32_e32 v10, 31, v9
	s_delay_alu instid0(VALU_DEP_1) | instskip(SKIP_1) | instid1(VALU_DEP_2)
	v_lshlrev_b64_e32 v[10:11], 1, v[9:10]
	v_ashrrev_i32_e32 v9, 31, v8
	v_add_co_u32 v36, s2, v16, v10
	s_wait_alu 0xf1ff
	s_delay_alu instid0(VALU_DEP_3) | instskip(SKIP_3) | instid1(SALU_CYCLE_1)
	v_add_co_ci_u32_e64 v38, null, v17, v11, s2
	s_and_b32 s2, s4, vcc_lo
	s_wait_alu 0xfffe
	s_and_b32 s41, s1, s2
	s_and_saveexec_b32 s3, s41
	s_cbranch_execz .LBB8_16
; %bb.15:                               ;   in Loop: Header=BB8_9 Depth=2
	v_lshlrev_b64_e32 v[10:11], 1, v[8:9]
	s_delay_alu instid0(VALU_DEP_1) | instskip(SKIP_1) | instid1(VALU_DEP_2)
	v_add_co_u32 v10, s2, v36, v10
	s_wait_alu 0xf1ff
	v_add_co_ci_u32_e64 v11, null, v38, v11, s2
	global_load_u16 v35, v[10:11], off
.LBB8_16:                               ;   in Loop: Header=BB8_9 Depth=2
	s_wait_alu 0xfffe
	s_or_b32 exec_lo, exec_lo, s3
	v_mul_lo_u32 v10, v31, s25
	v_cmp_lt_i32_e64 s2, v31, v6
	s_and_b32 s3, s4, s2
	s_wait_alu 0xfffe
	s_and_b32 s42, s1, s3
	v_ashrrev_i32_e32 v11, 31, v10
	s_wait_alu 0xfffe
	s_and_saveexec_b32 s5, s42
	s_cbranch_execz .LBB8_18
; %bb.17:                               ;   in Loop: Header=BB8_9 Depth=2
	s_delay_alu instid0(VALU_DEP_1) | instskip(NEXT) | instid1(VALU_DEP_1)
	v_lshlrev_b64_e32 v[12:13], 1, v[10:11]
	v_add_co_u32 v12, s3, v36, v12
	s_wait_alu 0xf1ff
	s_delay_alu instid0(VALU_DEP_2)
	v_add_co_ci_u32_e64 v13, null, v38, v13, s3
	global_load_u16 v33, v[12:13], off
.LBB8_18:                               ;   in Loop: Header=BB8_9 Depth=2
	s_wait_alu 0xfffe
	s_or_b32 exec_lo, exec_lo, s5
	v_dual_mov_b32 v37, 0 :: v_dual_add_nc_u32 v32, s27, v30
	v_mov_b32_e32 v34, 0
	s_delay_alu instid0(VALU_DEP_2)
	v_mul_lo_u32 v12, v32, s25
	v_cmp_lt_i32_e64 s3, v32, v6
	s_and_b32 s4, s4, s3
	s_wait_alu 0xfffe
	s_and_b32 s43, s1, s4
	v_ashrrev_i32_e32 v13, 31, v12
	s_wait_alu 0xfffe
	s_and_saveexec_b32 s5, s43
	s_cbranch_execz .LBB8_20
; %bb.19:                               ;   in Loop: Header=BB8_9 Depth=2
	s_delay_alu instid0(VALU_DEP_1) | instskip(NEXT) | instid1(VALU_DEP_1)
	v_lshlrev_b64_e32 v[39:40], 1, v[12:13]
	v_add_co_u32 v36, s4, v36, v39
	s_wait_alu 0xf1ff
	s_delay_alu instid0(VALU_DEP_2)
	v_add_co_ci_u32_e64 v37, null, v38, v40, s4
	global_load_u16 v37, v[36:37], off
.LBB8_20:                               ;   in Loop: Header=BB8_9 Depth=2
	s_wait_alu 0xfffe
	s_or_b32 exec_lo, exec_lo, s5
	v_add_nc_u32_e32 v39, s20, v5
	s_delay_alu instid0(VALU_DEP_1) | instskip(SKIP_1) | instid1(VALU_DEP_2)
	v_mul_lo_u32 v40, v39, s24
	v_cmp_lt_i32_e64 s4, v39, v28
	v_ashrrev_i32_e32 v41, 31, v40
	s_delay_alu instid0(VALU_DEP_1) | instskip(NEXT) | instid1(VALU_DEP_1)
	v_lshlrev_b64_e32 v[40:41], 1, v[40:41]
	v_add_co_u32 v38, s5, v16, v40
	s_wait_alu 0xf1ff
	s_delay_alu instid0(VALU_DEP_2) | instskip(SKIP_3) | instid1(SALU_CYCLE_1)
	v_add_co_ci_u32_e64 v41, null, v17, v41, s5
	s_and_b32 s5, s4, vcc_lo
	s_wait_alu 0xfffe
	s_and_b32 s44, s1, s5
	s_and_saveexec_b32 s45, s44
	s_cbranch_execz .LBB8_22
; %bb.21:                               ;   in Loop: Header=BB8_9 Depth=2
	v_lshlrev_b64_e32 v[42:43], 1, v[8:9]
	s_delay_alu instid0(VALU_DEP_1) | instskip(SKIP_1) | instid1(VALU_DEP_2)
	v_add_co_u32 v42, s5, v38, v42
	s_wait_alu 0xf1ff
	v_add_co_ci_u32_e64 v43, null, v41, v43, s5
	global_load_u16 v34, v[42:43], off
.LBB8_22:                               ;   in Loop: Header=BB8_9 Depth=2
	s_or_b32 exec_lo, exec_lo, s45
	v_mov_b32_e32 v36, 0
	v_mov_b32_e32 v40, 0
	s_and_b32 s5, s4, s2
	s_wait_alu 0xfffe
	s_and_b32 s46, s1, s5
	s_delay_alu instid0(SALU_CYCLE_1)
	s_and_saveexec_b32 s45, s46
	s_cbranch_execz .LBB8_24
; %bb.23:                               ;   in Loop: Header=BB8_9 Depth=2
	v_lshlrev_b64_e32 v[42:43], 1, v[10:11]
	s_delay_alu instid0(VALU_DEP_1) | instskip(SKIP_1) | instid1(VALU_DEP_2)
	v_add_co_u32 v42, s5, v38, v42
	s_wait_alu 0xf1ff
	v_add_co_ci_u32_e64 v43, null, v41, v43, s5
	global_load_u16 v40, v[42:43], off
.LBB8_24:                               ;   in Loop: Header=BB8_9 Depth=2
	s_or_b32 exec_lo, exec_lo, s45
	s_and_b32 s4, s4, s3
	s_wait_alu 0xfffe
	s_and_b32 s45, s1, s4
	s_delay_alu instid0(SALU_CYCLE_1)
	s_and_saveexec_b32 s5, s45
	s_cbranch_execz .LBB8_26
; %bb.25:                               ;   in Loop: Header=BB8_9 Depth=2
	v_lshlrev_b64_e32 v[42:43], 1, v[12:13]
	s_delay_alu instid0(VALU_DEP_1) | instskip(SKIP_1) | instid1(VALU_DEP_2)
	v_add_co_u32 v42, s4, v38, v42
	s_wait_alu 0xf1ff
	v_add_co_ci_u32_e64 v43, null, v41, v43, s4
	global_load_u16 v36, v[42:43], off
.LBB8_26:                               ;   in Loop: Header=BB8_9 Depth=2
	s_wait_alu 0xfffe
	s_or_b32 exec_lo, exec_lo, s5
	v_dual_mov_b32 v38, 0 :: v_dual_add_nc_u32 v41, s20, v39
	s_delay_alu instid0(VALU_DEP_1) | instskip(SKIP_1) | instid1(VALU_DEP_2)
	v_mul_lo_u32 v42, v41, s24
	v_cmp_lt_i32_e64 s4, v41, v28
	v_ashrrev_i32_e32 v43, 31, v42
	s_delay_alu instid0(VALU_DEP_1) | instskip(SKIP_1) | instid1(VALU_DEP_2)
	v_lshlrev_b64_e32 v[43:44], 1, v[42:43]
	v_mov_b32_e32 v42, 0
	v_add_co_u32 v43, s5, v16, v43
	s_wait_alu 0xf1ff
	s_delay_alu instid0(VALU_DEP_3) | instskip(SKIP_3) | instid1(SALU_CYCLE_1)
	v_add_co_ci_u32_e64 v44, null, v17, v44, s5
	s_and_b32 s5, s4, vcc_lo
	s_wait_alu 0xfffe
	s_and_b32 s47, s1, s5
	s_and_saveexec_b32 s5, s47
	s_cbranch_execz .LBB8_28
; %bb.27:                               ;   in Loop: Header=BB8_9 Depth=2
	v_lshlrev_b64_e32 v[8:9], 1, v[8:9]
	s_delay_alu instid0(VALU_DEP_1) | instskip(SKIP_1) | instid1(VALU_DEP_2)
	v_add_co_u32 v8, vcc_lo, v43, v8
	s_wait_alu 0xfffd
	v_add_co_ci_u32_e64 v9, null, v44, v9, vcc_lo
	global_load_u16 v42, v[8:9], off
.LBB8_28:                               ;   in Loop: Header=BB8_9 Depth=2
	s_wait_alu 0xfffe
	s_or_b32 exec_lo, exec_lo, s5
	s_and_b32 s2, s4, s2
	s_wait_alu 0xfffe
	s_and_b32 s5, s1, s2
	s_wait_alu 0xfffe
	s_and_saveexec_b32 s2, s5
	s_cbranch_execz .LBB8_30
; %bb.29:                               ;   in Loop: Header=BB8_9 Depth=2
	v_lshlrev_b64_e32 v[8:9], 1, v[10:11]
	s_delay_alu instid0(VALU_DEP_1) | instskip(SKIP_1) | instid1(VALU_DEP_2)
	v_add_co_u32 v8, vcc_lo, v43, v8
	s_wait_alu 0xfffd
	v_add_co_ci_u32_e64 v9, null, v44, v9, vcc_lo
	global_load_u16 v38, v[8:9], off
.LBB8_30:                               ;   in Loop: Header=BB8_9 Depth=2
	s_wait_alu 0xfffe
	s_or_b32 exec_lo, exec_lo, s2
	v_mov_b32_e32 v8, 0
	s_and_b32 s2, s4, s3
	s_wait_alu 0xfffe
	s_and_b32 s3, s1, s2
	s_wait_alu 0xfffe
	s_and_saveexec_b32 s2, s3
	s_cbranch_execz .LBB8_32
; %bb.31:                               ;   in Loop: Header=BB8_9 Depth=2
	v_lshlrev_b64_e32 v[8:9], 1, v[12:13]
	s_delay_alu instid0(VALU_DEP_1) | instskip(SKIP_1) | instid1(VALU_DEP_2)
	v_add_co_u32 v8, vcc_lo, v43, v8
	s_wait_alu 0xfffd
	v_add_co_ci_u32_e64 v9, null, v44, v9, vcc_lo
	global_load_u16 v8, v[8:9], off
.LBB8_32:                               ;   in Loop: Header=BB8_9 Depth=2
	s_wait_alu 0xfffe
	s_or_b32 exec_lo, exec_lo, s2
	v_mul_lo_u32 v9, v5, s11
	s_and_saveexec_b32 s4, s41
	s_cbranch_execz .LBB8_35
; %bb.33:                               ;   in Loop: Header=BB8_9 Depth=2
	ds_load_u16 v10, v18
	s_wait_loadcnt 0x0
	v_cmp_u_f16_e64 s2, v35, v35
	s_wait_dscnt 0x0
	v_cmp_lt_f16_e32 vcc_lo, v10, v35
	s_or_b32 s2, vcc_lo, s2
	s_wait_alu 0xfffe
	s_and_b32 exec_lo, exec_lo, s2
	s_cbranch_execz .LBB8_35
; %bb.34:                               ;   in Loop: Header=BB8_9 Depth=2
	v_add_nc_u32_e32 v10, v30, v9
	ds_store_b16 v18, v35
	ds_store_b32 v19, v10
.LBB8_35:                               ;   in Loop: Header=BB8_9 Depth=2
	s_wait_alu 0xfffe
	s_or_b32 exec_lo, exec_lo, s4
	s_and_saveexec_b32 s4, s42
	s_cbranch_execz .LBB8_38
; %bb.36:                               ;   in Loop: Header=BB8_9 Depth=2
	ds_load_u16 v10, v18
	s_wait_loadcnt 0x0
	v_cmp_u_f16_e64 s2, v33, v33
	s_wait_dscnt 0x0
	v_cmp_lt_f16_e32 vcc_lo, v10, v33
	s_or_b32 s2, vcc_lo, s2
	s_wait_alu 0xfffe
	s_and_b32 exec_lo, exec_lo, s2
	s_cbranch_execz .LBB8_38
; %bb.37:                               ;   in Loop: Header=BB8_9 Depth=2
	v_add_nc_u32_e32 v10, v31, v9
	ds_store_b16 v18, v33
	ds_store_b32 v19, v10
.LBB8_38:                               ;   in Loop: Header=BB8_9 Depth=2
	s_wait_alu 0xfffe
	s_or_b32 exec_lo, exec_lo, s4
	s_and_saveexec_b32 s4, s43
	s_cbranch_execz .LBB8_41
; %bb.39:                               ;   in Loop: Header=BB8_9 Depth=2
	ds_load_u16 v10, v18
	s_wait_loadcnt 0x0
	v_cmp_u_f16_e64 s2, v37, v37
	s_wait_dscnt 0x0
	v_cmp_lt_f16_e32 vcc_lo, v10, v37
	s_or_b32 s2, vcc_lo, s2
	s_wait_alu 0xfffe
	s_and_b32 exec_lo, exec_lo, s2
	s_cbranch_execz .LBB8_41
; %bb.40:                               ;   in Loop: Header=BB8_9 Depth=2
	v_add_nc_u32_e32 v9, v32, v9
	ds_store_b16 v18, v37
	ds_store_b32 v19, v9
.LBB8_41:                               ;   in Loop: Header=BB8_9 Depth=2
	s_wait_alu 0xfffe
	s_or_b32 exec_lo, exec_lo, s4
	v_mul_lo_u32 v9, v39, s11
	s_and_saveexec_b32 s4, s44
	s_cbranch_execz .LBB8_44
; %bb.42:                               ;   in Loop: Header=BB8_9 Depth=2
	ds_load_u16 v10, v18
	s_wait_loadcnt 0x0
	v_cmp_u_f16_e64 s2, v34, v34
	s_wait_dscnt 0x0
	v_cmp_lt_f16_e32 vcc_lo, v10, v34
	s_or_b32 s2, vcc_lo, s2
	s_wait_alu 0xfffe
	s_and_b32 exec_lo, exec_lo, s2
	s_cbranch_execz .LBB8_44
; %bb.43:                               ;   in Loop: Header=BB8_9 Depth=2
	v_add_nc_u32_e32 v10, v30, v9
	ds_store_b16 v18, v34
	ds_store_b32 v19, v10
.LBB8_44:                               ;   in Loop: Header=BB8_9 Depth=2
	s_wait_alu 0xfffe
	s_or_b32 exec_lo, exec_lo, s4
	s_and_saveexec_b32 s4, s46
	s_cbranch_execz .LBB8_47
; %bb.45:                               ;   in Loop: Header=BB8_9 Depth=2
	ds_load_u16 v10, v18
	s_wait_loadcnt 0x0
	v_cmp_u_f16_e64 s2, v40, v40
	s_wait_dscnt 0x0
	v_cmp_lt_f16_e32 vcc_lo, v10, v40
	s_or_b32 s2, vcc_lo, s2
	s_wait_alu 0xfffe
	s_and_b32 exec_lo, exec_lo, s2
	s_cbranch_execz .LBB8_47
; %bb.46:                               ;   in Loop: Header=BB8_9 Depth=2
	v_add_nc_u32_e32 v10, v31, v9
	ds_store_b16 v18, v40
	ds_store_b32 v19, v10
.LBB8_47:                               ;   in Loop: Header=BB8_9 Depth=2
	s_wait_alu 0xfffe
	s_or_b32 exec_lo, exec_lo, s4
	s_and_saveexec_b32 s4, s45
	s_cbranch_execz .LBB8_50
; %bb.48:                               ;   in Loop: Header=BB8_9 Depth=2
	ds_load_u16 v10, v18
	s_wait_loadcnt 0x0
	v_cmp_u_f16_e64 s2, v36, v36
	s_wait_dscnt 0x0
	v_cmp_lt_f16_e32 vcc_lo, v10, v36
	s_or_b32 s2, vcc_lo, s2
	s_wait_alu 0xfffe
	s_and_b32 exec_lo, exec_lo, s2
	s_cbranch_execz .LBB8_50
; %bb.49:                               ;   in Loop: Header=BB8_9 Depth=2
	v_add_nc_u32_e32 v9, v32, v9
	ds_store_b16 v18, v36
	ds_store_b32 v19, v9
.LBB8_50:                               ;   in Loop: Header=BB8_9 Depth=2
	;; [unrolled: 58-line block ×3, first 2 shown]
	s_wait_alu 0xfffe
	s_or_b32 exec_lo, exec_lo, s4
	s_branch .LBB8_13
.LBB8_60:                               ;   in Loop: Header=BB8_9 Depth=2
	s_mov_b32 s4, exec_lo
	v_cmpx_lt_i32_e64 v5, v28
	s_cbranch_execz .LBB8_71
; %bb.61:                               ;   in Loop: Header=BB8_9 Depth=2
	v_mov_b32_e32 v10, v5
	s_mov_b32 s5, 0
	v_cmp_lt_i32_e32 vcc_lo, v30, v6
	s_branch .LBB8_63
.LBB8_62:                               ;   in Loop: Header=BB8_63 Depth=3
	s_or_b32 exec_lo, exec_lo, s41
	v_add_nc_u32_e32 v10, s20, v10
	s_delay_alu instid0(VALU_DEP_1)
	v_cmp_ge_i32_e64 s2, v10, v28
	s_wait_alu 0xfffe
	s_or_b32 s5, s2, s5
	s_wait_alu 0xfffe
	s_and_not1_b32 exec_lo, exec_lo, s5
	s_cbranch_execz .LBB8_71
.LBB8_63:                               ;   Parent Loop BB8_6 Depth=1
                                        ;     Parent Loop BB8_9 Depth=2
                                        ; =>    This Loop Header: Depth=3
                                        ;         Child Loop BB8_66 Depth 4
                                        ;           Child Loop BB8_69 Depth 5
	s_and_saveexec_b32 s41, vcc_lo
	s_cbranch_execz .LBB8_62
; %bb.64:                               ;   in Loop: Header=BB8_63 Depth=3
	s_wait_loadcnt 0x0
	v_mul_lo_u32 v8, v10, s24
	v_mul_lo_u32 v11, v10, s11
	v_mov_b32_e32 v31, v30
	s_mov_b32 s42, 0
	s_delay_alu instid0(VALU_DEP_3) | instskip(NEXT) | instid1(VALU_DEP_1)
	v_ashrrev_i32_e32 v9, 31, v8
	v_lshlrev_b64_e32 v[8:9], 1, v[8:9]
	s_delay_alu instid0(VALU_DEP_1) | instskip(SKIP_1) | instid1(VALU_DEP_2)
	v_add_co_u32 v12, s2, s14, v8
	s_wait_alu 0xf1ff
	v_add_co_ci_u32_e64 v13, null, s15, v9, s2
	s_branch .LBB8_66
.LBB8_65:                               ;   in Loop: Header=BB8_66 Depth=4
	s_wait_alu 0xfffe
	s_or_b32 exec_lo, exec_lo, s43
	v_add_nc_u32_e32 v31, s21, v31
	s_delay_alu instid0(VALU_DEP_1)
	v_cmp_ge_i32_e64 s2, v31, v6
	s_or_b32 s42, s2, s42
	s_wait_alu 0xfffe
	s_and_not1_b32 exec_lo, exec_lo, s42
	s_cbranch_execz .LBB8_62
.LBB8_66:                               ;   Parent Loop BB8_6 Depth=1
                                        ;     Parent Loop BB8_9 Depth=2
                                        ;       Parent Loop BB8_63 Depth=3
                                        ; =>      This Loop Header: Depth=4
                                        ;           Child Loop BB8_69 Depth 5
	s_and_saveexec_b32 s43, s1
	s_cbranch_execz .LBB8_65
; %bb.67:                               ;   in Loop: Header=BB8_66 Depth=4
	v_mul_lo_u32 v8, v31, s25
	v_dual_mov_b32 v33, v21 :: v_dual_add_nc_u32 v32, v31, v11
	v_dual_mov_b32 v34, v20 :: v_dual_mov_b32 v37, v1
	s_mov_b32 s44, 0
	s_delay_alu instid0(VALU_DEP_3) | instskip(NEXT) | instid1(VALU_DEP_1)
	v_ashrrev_i32_e32 v9, 31, v8
	v_lshlrev_b64_e32 v[35:36], 1, v[8:9]
	v_mov_b32_e32 v8, v4
	s_delay_alu instid0(VALU_DEP_2) | instskip(SKIP_1) | instid1(VALU_DEP_3)
	v_add_co_u32 v35, s2, v12, v35
	s_wait_alu 0xf1ff
	v_add_co_ci_u32_e64 v36, null, v13, v36, s2
	s_branch .LBB8_69
.LBB8_68:                               ;   in Loop: Header=BB8_69 Depth=5
	s_wait_alu 0xfffe
	s_or_b32 exec_lo, exec_lo, s2
	v_add_nc_u32_e32 v37, s12, v37
	v_add_nc_u32_e32 v8, s35, v8
	;; [unrolled: 1-line block ×4, first 2 shown]
	s_delay_alu instid0(VALU_DEP_4) | instskip(SKIP_1) | instid1(SALU_CYCLE_1)
	v_cmp_le_i32_e64 s2, s9, v37
	s_or_b32 s44, s2, s44
	s_and_not1_b32 exec_lo, exec_lo, s44
	s_cbranch_execz .LBB8_65
.LBB8_69:                               ;   Parent Loop BB8_6 Depth=1
                                        ;     Parent Loop BB8_9 Depth=2
                                        ;       Parent Loop BB8_63 Depth=3
                                        ;         Parent Loop BB8_66 Depth=4
                                        ; =>        This Inner Loop Header: Depth=5
	v_ashrrev_i32_e32 v9, 31, v8
	s_delay_alu instid0(VALU_DEP_1) | instskip(NEXT) | instid1(VALU_DEP_1)
	v_lshlrev_b64_e32 v[38:39], 1, v[8:9]
	v_add_co_u32 v38, s2, v35, v38
	s_wait_alu 0xf1ff
	s_delay_alu instid0(VALU_DEP_2)
	v_add_co_ci_u32_e64 v39, null, v36, v39, s2
	global_load_u16 v9, v[38:39], off
	ds_load_u16 v38, v34
	s_wait_loadcnt_dscnt 0x0
	v_cmp_lt_f16_e64 s2, v38, v9
	v_cmp_u_f16_e64 s3, v9, v9
	s_or_b32 s3, s2, s3
	s_wait_alu 0xfffe
	s_and_saveexec_b32 s2, s3
	s_cbranch_execz .LBB8_68
; %bb.70:                               ;   in Loop: Header=BB8_69 Depth=5
	ds_store_b16 v34, v9
	ds_store_b32 v33, v32
	s_branch .LBB8_68
.LBB8_71:                               ;   in Loop: Header=BB8_9 Depth=2
	s_wait_alu 0xfffe
	s_or_b32 exec_lo, exec_lo, s4
	s_and_saveexec_b32 s3, s1
	s_cbranch_execz .LBB8_8
.LBB8_72:                               ;   in Loop: Header=BB8_9 Depth=2
	s_wait_loadcnt 0x0
	v_ashrrev_i32_e32 v8, 31, v7
	v_dual_mov_b32 v6, v21 :: v_dual_mov_b32 v13, v1
	s_mov_b32 s4, 0
	s_delay_alu instid0(VALU_DEP_2) | instskip(SKIP_1) | instid1(VALU_DEP_2)
	v_lshlrev_b64_e32 v[9:10], 1, v[7:8]
	v_lshlrev_b64_e32 v[11:12], 3, v[7:8]
	v_add_co_u32 v8, vcc_lo, v22, v9
	s_wait_alu 0xfffd
	s_delay_alu instid0(VALU_DEP_3) | instskip(NEXT) | instid1(VALU_DEP_3)
	v_add_co_ci_u32_e64 v9, null, v23, v10, vcc_lo
	v_add_co_u32 v10, vcc_lo, v2, v11
	s_wait_alu 0xfffd
	v_add_co_ci_u32_e64 v11, null, v25, v12, vcc_lo
	v_mov_b32_e32 v12, v20
.LBB8_73:                               ;   Parent Loop BB8_6 Depth=1
                                        ;     Parent Loop BB8_9 Depth=2
                                        ; =>    This Inner Loop Header: Depth=3
	ds_load_b32 v30, v6
	ds_load_u16 v31, v12
	v_add_nc_u32_e32 v13, s12, v13
	ds_store_b16 v12, v26
	ds_store_b32 v6, v27
	v_add_nc_u32_e32 v12, s36, v12
	v_add_nc_u32_e32 v6, s37, v6
	v_cmp_le_i32_e32 vcc_lo, s9, v13
	s_wait_alu 0xfffe
	s_or_b32 s4, vcc_lo, s4
	s_wait_dscnt 0x2
	global_store_b16 v[8:9], v31, off
	v_ashrrev_i32_e32 v31, 31, v30
	v_add_co_u32 v8, s2, v8, s6
	s_wait_alu 0xf1ff
	v_add_co_ci_u32_e64 v9, null, s7, v9, s2
	global_store_b64 v[10:11], v[30:31], off
	v_add_co_u32 v10, s2, v10, s22
	s_wait_alu 0xf1ff
	v_add_co_ci_u32_e64 v11, null, s23, v11, s2
	s_wait_alu 0xfffe
	s_and_not1_b32 exec_lo, exec_lo, s4
	s_cbranch_execnz .LBB8_73
	s_branch .LBB8_8
.LBB8_74:
	s_endpgm
	.section	.rodata,"a",@progbits
	.p2align	6, 0x0
	.amdhsa_kernel _ZN2at6native12_GLOBAL__N_121max_pool_forward_nhwcIN3c104HalfEiEEvPKT_iT0_S8_S8_S8_S8_iiiiiiiiS8_S8_S8_S8_iiPS5_Pl
		.amdhsa_group_segment_fixed_size 0
		.amdhsa_private_segment_fixed_size 0
		.amdhsa_kernarg_size 360
		.amdhsa_user_sgpr_count 2
		.amdhsa_user_sgpr_dispatch_ptr 0
		.amdhsa_user_sgpr_queue_ptr 0
		.amdhsa_user_sgpr_kernarg_segment_ptr 1
		.amdhsa_user_sgpr_dispatch_id 0
		.amdhsa_user_sgpr_private_segment_size 0
		.amdhsa_wavefront_size32 1
		.amdhsa_uses_dynamic_stack 0
		.amdhsa_enable_private_segment 0
		.amdhsa_system_sgpr_workgroup_id_x 1
		.amdhsa_system_sgpr_workgroup_id_y 1
		.amdhsa_system_sgpr_workgroup_id_z 1
		.amdhsa_system_sgpr_workgroup_info 0
		.amdhsa_system_vgpr_workitem_id 2
		.amdhsa_next_free_vgpr 45
		.amdhsa_next_free_sgpr 48
		.amdhsa_reserve_vcc 1
		.amdhsa_float_round_mode_32 0
		.amdhsa_float_round_mode_16_64 0
		.amdhsa_float_denorm_mode_32 3
		.amdhsa_float_denorm_mode_16_64 3
		.amdhsa_fp16_overflow 0
		.amdhsa_workgroup_processor_mode 1
		.amdhsa_memory_ordered 1
		.amdhsa_forward_progress 1
		.amdhsa_inst_pref_size 31
		.amdhsa_round_robin_scheduling 0
		.amdhsa_exception_fp_ieee_invalid_op 0
		.amdhsa_exception_fp_denorm_src 0
		.amdhsa_exception_fp_ieee_div_zero 0
		.amdhsa_exception_fp_ieee_overflow 0
		.amdhsa_exception_fp_ieee_underflow 0
		.amdhsa_exception_fp_ieee_inexact 0
		.amdhsa_exception_int_div_zero 0
	.end_amdhsa_kernel
	.section	.text._ZN2at6native12_GLOBAL__N_121max_pool_forward_nhwcIN3c104HalfEiEEvPKT_iT0_S8_S8_S8_S8_iiiiiiiiS8_S8_S8_S8_iiPS5_Pl,"axG",@progbits,_ZN2at6native12_GLOBAL__N_121max_pool_forward_nhwcIN3c104HalfEiEEvPKT_iT0_S8_S8_S8_S8_iiiiiiiiS8_S8_S8_S8_iiPS5_Pl,comdat
.Lfunc_end8:
	.size	_ZN2at6native12_GLOBAL__N_121max_pool_forward_nhwcIN3c104HalfEiEEvPKT_iT0_S8_S8_S8_S8_iiiiiiiiS8_S8_S8_S8_iiPS5_Pl, .Lfunc_end8-_ZN2at6native12_GLOBAL__N_121max_pool_forward_nhwcIN3c104HalfEiEEvPKT_iT0_S8_S8_S8_S8_iiiiiiiiS8_S8_S8_S8_iiPS5_Pl
                                        ; -- End function
	.set _ZN2at6native12_GLOBAL__N_121max_pool_forward_nhwcIN3c104HalfEiEEvPKT_iT0_S8_S8_S8_S8_iiiiiiiiS8_S8_S8_S8_iiPS5_Pl.num_vgpr, 45
	.set _ZN2at6native12_GLOBAL__N_121max_pool_forward_nhwcIN3c104HalfEiEEvPKT_iT0_S8_S8_S8_S8_iiiiiiiiS8_S8_S8_S8_iiPS5_Pl.num_agpr, 0
	.set _ZN2at6native12_GLOBAL__N_121max_pool_forward_nhwcIN3c104HalfEiEEvPKT_iT0_S8_S8_S8_S8_iiiiiiiiS8_S8_S8_S8_iiPS5_Pl.numbered_sgpr, 48
	.set _ZN2at6native12_GLOBAL__N_121max_pool_forward_nhwcIN3c104HalfEiEEvPKT_iT0_S8_S8_S8_S8_iiiiiiiiS8_S8_S8_S8_iiPS5_Pl.num_named_barrier, 0
	.set _ZN2at6native12_GLOBAL__N_121max_pool_forward_nhwcIN3c104HalfEiEEvPKT_iT0_S8_S8_S8_S8_iiiiiiiiS8_S8_S8_S8_iiPS5_Pl.private_seg_size, 0
	.set _ZN2at6native12_GLOBAL__N_121max_pool_forward_nhwcIN3c104HalfEiEEvPKT_iT0_S8_S8_S8_S8_iiiiiiiiS8_S8_S8_S8_iiPS5_Pl.uses_vcc, 1
	.set _ZN2at6native12_GLOBAL__N_121max_pool_forward_nhwcIN3c104HalfEiEEvPKT_iT0_S8_S8_S8_S8_iiiiiiiiS8_S8_S8_S8_iiPS5_Pl.uses_flat_scratch, 0
	.set _ZN2at6native12_GLOBAL__N_121max_pool_forward_nhwcIN3c104HalfEiEEvPKT_iT0_S8_S8_S8_S8_iiiiiiiiS8_S8_S8_S8_iiPS5_Pl.has_dyn_sized_stack, 0
	.set _ZN2at6native12_GLOBAL__N_121max_pool_forward_nhwcIN3c104HalfEiEEvPKT_iT0_S8_S8_S8_S8_iiiiiiiiS8_S8_S8_S8_iiPS5_Pl.has_recursion, 0
	.set _ZN2at6native12_GLOBAL__N_121max_pool_forward_nhwcIN3c104HalfEiEEvPKT_iT0_S8_S8_S8_S8_iiiiiiiiS8_S8_S8_S8_iiPS5_Pl.has_indirect_call, 0
	.section	.AMDGPU.csdata,"",@progbits
; Kernel info:
; codeLenInByte = 3928
; TotalNumSgprs: 50
; NumVgprs: 45
; ScratchSize: 0
; MemoryBound: 0
; FloatMode: 240
; IeeeMode: 1
; LDSByteSize: 0 bytes/workgroup (compile time only)
; SGPRBlocks: 0
; VGPRBlocks: 5
; NumSGPRsForWavesPerEU: 50
; NumVGPRsForWavesPerEU: 45
; Occupancy: 16
; WaveLimiterHint : 1
; COMPUTE_PGM_RSRC2:SCRATCH_EN: 0
; COMPUTE_PGM_RSRC2:USER_SGPR: 2
; COMPUTE_PGM_RSRC2:TRAP_HANDLER: 0
; COMPUTE_PGM_RSRC2:TGID_X_EN: 1
; COMPUTE_PGM_RSRC2:TGID_Y_EN: 1
; COMPUTE_PGM_RSRC2:TGID_Z_EN: 1
; COMPUTE_PGM_RSRC2:TIDIG_COMP_CNT: 2
	.section	.text._ZN2at6native12_GLOBAL__N_121max_pool_forward_nhwcIN3c104HalfElEEvPKT_iT0_S8_S8_S8_S8_iiiiiiiiS8_S8_S8_S8_iiPS5_Pl,"axG",@progbits,_ZN2at6native12_GLOBAL__N_121max_pool_forward_nhwcIN3c104HalfElEEvPKT_iT0_S8_S8_S8_S8_iiiiiiiiS8_S8_S8_S8_iiPS5_Pl,comdat
	.globl	_ZN2at6native12_GLOBAL__N_121max_pool_forward_nhwcIN3c104HalfElEEvPKT_iT0_S8_S8_S8_S8_iiiiiiiiS8_S8_S8_S8_iiPS5_Pl ; -- Begin function _ZN2at6native12_GLOBAL__N_121max_pool_forward_nhwcIN3c104HalfElEEvPKT_iT0_S8_S8_S8_S8_iiiiiiiiS8_S8_S8_S8_iiPS5_Pl
	.p2align	8
	.type	_ZN2at6native12_GLOBAL__N_121max_pool_forward_nhwcIN3c104HalfElEEvPKT_iT0_S8_S8_S8_S8_iiiiiiiiS8_S8_S8_S8_iiPS5_Pl,@function
_ZN2at6native12_GLOBAL__N_121max_pool_forward_nhwcIN3c104HalfElEEvPKT_iT0_S8_S8_S8_S8_iiiiiiiiS8_S8_S8_S8_iiPS5_Pl: ; @_ZN2at6native12_GLOBAL__N_121max_pool_forward_nhwcIN3c104HalfElEEvPKT_iT0_S8_S8_S8_S8_iiiiiiiiS8_S8_S8_S8_iiPS5_Pl
; %bb.0:
	s_clause 0x1
	s_load_b128 s[4:7], s[0:1], 0x94
	s_load_b64 s[44:45], s[0:1], 0x78
	v_bfe_u32 v2, v0, 10, 10
	v_bfe_u32 v1, v0, 20, 10
	v_and_b32_e32 v6, 0x3ff, v0
	s_wait_kmcnt 0x0
	s_lshr_b32 s33, s6, 16
	s_and_b32 s46, s6, 0xffff
	v_mad_u32_u24 v7, v1, s33, v2
	s_mul_i32 s2, s45, s46
	s_and_b32 s52, s7, 0xffff
	s_mul_i32 s3, s2, s33
	s_mov_b32 s6, exec_lo
	v_mad_co_u64_u32 v[3:4], null, v7, s46, v[6:7]
	s_mul_i32 s3, s3, s52
	s_delay_alu instid0(SALU_CYCLE_1)
	v_cmpx_gt_u32_e64 s3, v3
	s_cbranch_execz .LBB9_3
; %bb.1:
	v_dual_mov_b32 v9, 0xfffffc00 :: v_dual_lshlrev_b32 v0, 1, v3
	v_mov_b32_e32 v4, 0
	s_lshl_b32 s8, s3, 3
	s_mul_i32 s7, s33, s46
	s_delay_alu instid0(VALU_DEP_2)
	v_add3_u32 v0, 0, s8, v0
	v_lshl_add_u32 v8, v3, 3, 0
	v_mov_b32_e32 v5, v4
	s_mul_i32 s7, s7, s52
	s_mov_b32 s8, 0
	s_lshl_b32 s9, s7, 1
	s_lshl_b32 s10, s7, 3
.LBB9_2:                                ; =>This Inner Loop Header: Depth=1
	v_add_nc_u32_e32 v3, s7, v3
	ds_store_b16 v0, v9
	ds_store_b64 v8, v[4:5]
	s_wait_alu 0xfffe
	v_add_nc_u32_e32 v0, s9, v0
	v_add_nc_u32_e32 v8, s10, v8
	v_cmp_le_u32_e32 vcc_lo, s3, v3
	s_or_b32 s8, vcc_lo, s8
	s_wait_alu 0xfffe
	s_and_not1_b32 exec_lo, exec_lo, s8
	s_cbranch_execnz .LBB9_2
.LBB9_3:
	s_or_b32 exec_lo, exec_lo, s6
	s_cvt_f32_u32 s6, s5
	s_load_b256 s[12:19], s[0:1], 0x10
	s_sub_co_i32 s7, 0, s5
	s_wait_dscnt 0x0
	v_rcp_iflag_f32_e32 v0, s6
	s_barrier_signal -1
	s_barrier_wait -1
	global_inv scope:SCOPE_SE
	v_readfirstlane_b32 s6, v0
	s_mul_f32 s6, s6, 0x4f7ffffe
	s_wait_kmcnt 0x0
	s_add_co_i32 s8, s18, s5
	s_wait_alu 0xfffe
	s_add_co_i32 s8, s8, -1
	s_cvt_u32_f32 s6, s6
	s_wait_alu 0xfffe
	s_delay_alu instid0(SALU_CYCLE_2)
	s_mul_i32 s7, s7, s6
	s_wait_alu 0xfffe
	s_mul_hi_u32 s7, s6, s7
	s_wait_alu 0xfffe
	s_add_co_i32 s7, s6, s7
	s_load_b32 s6, s[0:1], 0x8
	s_mul_hi_u32 s7, s8, s7
	s_wait_alu 0xfffe
	s_mul_i32 s9, s7, s5
	s_wait_alu 0xfffe
	s_sub_co_i32 s8, s8, s9
	s_add_co_i32 s9, s7, 1
	s_wait_alu 0xfffe
	s_sub_co_i32 s10, s8, s5
	s_cmp_ge_u32 s8, s5
	s_cselect_b32 s7, s9, s7
	s_wait_alu 0xfffe
	s_cselect_b32 s8, s10, s8
	s_add_co_i32 s9, s7, 1
	s_wait_alu 0xfffe
	s_cmp_ge_u32 s8, s5
	s_cvt_f32_u32 s8, s4
	s_cselect_b32 s5, s9, s7
	s_lshr_b32 s7, ttmp7, 16
	s_mov_b32 s9, 0
	s_wait_alu 0xfffe
	v_mad_co_u64_u32 v[0:1], null, s5, s7, v[1:2]
	s_wait_kmcnt 0x0
	s_cvt_f32_u32 s7, s6
	v_rcp_iflag_f32_e32 v3, s8
	s_mov_b32 s8, exec_lo
	s_wait_alu 0xfffe
	v_rcp_iflag_f32_e32 v1, s7
	s_delay_alu instid0(VALU_DEP_1) | instskip(NEXT) | instid1(TRANS32_DEP_2)
	v_add_nc_u32_e32 v4, s5, v0
	v_readfirstlane_b32 s5, v3
	s_delay_alu instid0(VALU_DEP_2) | instskip(NEXT) | instid1(TRANS32_DEP_1)
	v_min_i32_e32 v34, s18, v4
	v_readfirstlane_b32 s7, v1
	s_delay_alu instid0(VALU_DEP_2)
	v_cmpx_lt_i32_e64 v0, v34
	s_cbranch_execz .LBB9_78
; %bb.4:
	s_load_b64 s[10:11], s[0:1], 0x30
	s_mul_f32 s7, s7, 0x4f7ffffe
	s_mul_f32 s5, s5, 0x4f7ffffe
	s_sub_co_i32 s28, 0, s6
	s_sub_co_i32 s30, 0, s4
	s_wait_alu 0xfffe
	s_cvt_u32_f32 s7, s7
	s_cvt_u32_f32 s5, s5
	s_mov_b32 s8, ttmp9
	s_mov_b32 s29, s9
	s_wait_alu 0xfffe
	s_mul_i32 s28, s28, s7
	s_mul_i32 s30, s30, s5
	s_mul_hi_u32 s28, s7, s28
	s_load_b256 s[20:27], s[0:1], 0x58
	s_add_co_i32 s28, s7, s28
	s_mul_hi_u32 s7, s5, s30
	s_mul_u64 s[28:29], s[8:9], s[28:29]
	s_load_b64 s[30:31], s[0:1], 0x0
	s_add_co_i32 s28, s5, s7
	s_mul_i32 s7, s29, s6
	s_lshl_b32 s3, s3, 3
	s_wait_kmcnt 0x0
	s_add_co_i32 s5, s10, s4
	s_and_b32 s34, ttmp7, 0xffff
	s_wait_alu 0xfffe
	s_add_co_i32 s8, s5, -1
	s_sub_co_i32 s5, ttmp9, s7
	s_add_co_i32 s3, s3, 0
	s_add_co_i32 s7, s29, 1
	s_wait_alu 0xfffe
	s_sub_co_i32 s35, s5, s6
	s_cmp_ge_u32 s5, s6
	v_mul_lo_u32 v4, s2, v7
	s_cselect_b32 s7, s7, s29
	s_cselect_b32 s5, s35, s5
	s_wait_alu 0xfffe
	s_add_co_i32 s29, s7, 1
	s_cmp_ge_u32 s5, s6
	v_lshlrev_b32_e32 v12, 1, v7
	s_cselect_b32 s5, s29, s7
	s_mov_b32 s29, s9
	s_wait_alu 0xfffe
	s_mul_i32 s35, s5, s6
	s_mul_u64 s[6:7], s[8:9], s[28:29]
	s_sub_co_i32 s48, ttmp9, s35
	s_wait_alu 0xfffe
	s_mul_i32 s6, s7, s4
	s_ashr_i32 s49, s48, 31
	s_wait_alu 0xfffe
	s_sub_co_i32 s6, s8, s6
	s_mul_u64 s[20:21], s[20:21], s[48:49]
	s_add_co_i32 s8, s7, 1
	s_lshl_b64 s[20:21], s[20:21], 1
	s_wait_alu 0xfffe
	s_sub_co_i32 s28, s6, s4
	s_cmp_ge_u32 s6, s4
	v_lshlrev_b32_e32 v10, 1, v4
	s_cselect_b32 s7, s8, s7
	s_cselect_b32 s6, s28, s6
	s_wait_alu 0xfffe
	s_add_co_i32 s8, s7, 1
	s_cmp_ge_u32 s6, s4
	v_lshlrev_b32_e32 v11, 3, v4
	s_wait_alu 0xfffe
	s_cselect_b32 s2, s8, s7
	s_mul_i32 s8, s44, s46
	s_wait_alu 0xfffe
	v_mad_co_u64_u32 v[1:2], null, s2, s34, v[2:3]
	v_mad_co_u64_u32 v[2:3], null, s5, s46, v[6:7]
	s_load_b256 s[36:43], s[0:1], 0x38
	s_add_nc_u64 s[20:21], s[30:31], s[20:21]
	v_mul_lo_u32 v7, s45, v7
	s_load_b128 s[4:7], s[0:1], 0x80
	v_add_nc_u32_e32 v4, s2, v1
	v_cmp_le_i64_e64 s2, s[12:13], s[8:9]
	v_ashrrev_i32_e32 v3, 31, v2
	v_mul_lo_u32 v9, s23, v2
	s_mul_i32 s8, s33, s52
	v_min_i32_e32 v35, s10, v4
	v_mad_co_u64_u32 v[4:5], null, s22, v2, 0
	v_mul_lo_u32 v8, s22, v3
	v_mul_lo_u32 v7, v7, s46
	s_mov_b32 s47, s9
	s_mov_b32 s50, s44
	s_mul_u64 s[18:19], s[10:11], s[18:19]
	s_mov_b32 s62, 0
	s_wait_alu 0xfffe
	s_mul_u64 s[48:49], s[18:19], s[48:49]
	v_mov_b32_e32 v42, 0xfffffc00
	v_add3_u32 v5, v5, v8, v9
	v_lshlrev_b32_e32 v7, 3, v7
	s_wait_kmcnt 0x0
	s_add_co_i32 s0, s36, -1
	s_add_co_i32 s1, s37, -1
	s_mul_i32 s0, s42, s0
	v_lshlrev_b64_e32 v[8:9], 1, v[4:5]
	s_mul_i32 s1, s43, s1
	s_add_co_i32 s54, s0, 1
	s_add_co_i32 s57, s1, 1
	s_max_i32 s1, s36, s37
	s_ashr_i32 s55, s40, 31
	v_add_co_u32 v36, vcc_lo, s20, v8
	v_lshl_add_u32 v8, s8, 3, v12
	v_add_co_ci_u32_e64 v37, null, s21, v9, vcc_lo
	v_lshlrev_b32_e32 v9, 1, v6
	v_lshlrev_b32_e32 v6, 3, v6
	s_delay_alu instid0(VALU_DEP_4)
	v_mul_lo_u32 v8, s45, v8
	s_ashr_i32 s56, s54, 31
	s_ashr_i32 s29, s41, 31
	v_add3_u32 v38, s3, v10, v9
	v_add3_u32 v41, v7, v6, 0
	v_mov_b32_e32 v10, 0
	v_add3_u32 v39, 0, v11, v6
	v_lshlrev_b64_e32 v[6:7], 3, v[2:3]
	v_mul_lo_u32 v8, v8, s46
	s_ashr_i32 s58, s57, 31
	s_ashr_i32 s31, s42, 31
	;; [unrolled: 1-line block ×3, first 2 shown]
	s_mov_b32 s30, s42
	s_cmp_lt_i32 s1, 4
	v_cmp_gt_u64_e64 s8, s[30:31], 1
	v_add_co_u32 v6, vcc_lo, s6, v6
	v_add3_u32 v40, v8, v9, 0
	v_lshlrev_b64_e32 v[8:9], 1, v[2:3]
	s_cselect_b32 s1, -1, 0
	s_wait_alu 0xfffd
	v_add_co_ci_u32_e64 v7, null, s7, v7, vcc_lo
	s_mov_b32 s28, s41
	s_mov_b32 s34, s43
	v_add_co_u32 v8, vcc_lo, s4, v8
	s_and_b32 s59, s1, s2
	v_cmp_le_i64_e64 s1, s[12:13], v[2:3]
	v_cmp_gt_i64_e64 s2, s[12:13], v[2:3]
	s_ashr_i32 s51, s44, 31
	v_cmp_lt_i32_e64 s0, v1, v35
	s_wait_alu 0xfffd
	v_add_co_ci_u32_e64 v9, null, s5, v9, vcc_lo
	s_mul_u64 s[36:37], s[46:47], s[50:51]
	s_wait_alu 0xfffe
	s_add_nc_u64 s[44:45], s[28:29], s[34:35]
	s_mul_u64 s[50:51], s[22:23], s[50:51]
	s_and_b32 s8, s8, exec_lo
	s_mov_b32 s53, s40
	s_cselect_b32 s41, s31, 0
	s_cselect_b32 s40, s42, 1
	s_wait_alu 0xfffe
	s_sub_nc_u64 s[22:23], 0, s[44:45]
	s_mul_u64 s[44:45], s[50:51], s[46:47]
	s_lshl_b32 s60, s46, 1
	s_lshl_b32 s61, s46, 3
	s_lshl_b64 s[18:19], s[48:49], 3
	s_lshl_b64 s[46:47], s[36:37], 3
	s_lshl_b64 s[48:49], s[48:49], 1
	s_lshl_b64 s[50:51], s[36:37], 1
	s_branch .LBB9_6
.LBB9_5:                                ;   in Loop: Header=BB9_6 Depth=1
	s_or_b32 exec_lo, exec_lo, s63
	v_add_nc_u32_e32 v0, s52, v0
	s_delay_alu instid0(VALU_DEP_1) | instskip(SKIP_1) | instid1(SALU_CYCLE_1)
	v_cmp_ge_i32_e32 vcc_lo, v0, v34
	s_or_b32 s62, vcc_lo, s62
	s_and_not1_b32 exec_lo, exec_lo, s62
	s_cbranch_execz .LBB9_78
.LBB9_6:                                ; =>This Loop Header: Depth=1
                                        ;     Child Loop BB9_9 Depth 2
                                        ;       Child Loop BB9_14 Depth 3
                                        ;       Child Loop BB9_67 Depth 3
                                        ;         Child Loop BB9_70 Depth 4
                                        ;           Child Loop BB9_73 Depth 5
                                        ;       Child Loop BB9_77 Depth 3
	s_and_saveexec_b32 s63, s0
	s_cbranch_execz .LBB9_5
; %bb.7:                                ;   in Loop: Header=BB9_6 Depth=1
	v_mad_co_i64_i32 v[12:13], null, v0, s38, 0
	v_ashrrev_i32_e32 v11, 31, v0
	v_mul_lo_u32 v18, s11, v0
	v_mad_co_u64_u32 v[14:15], null, s10, v0, 0
	s_mov_b32 s64, 0
	v_mul_lo_u32 v11, s10, v11
	v_sub_co_u32 v12, vcc_lo, v12, s53
	s_wait_alu 0xfffd
	v_subrev_co_ci_u32_e64 v13, null, s55, v13, vcc_lo
	v_mov_b32_e32 v43, v1
	s_delay_alu instid0(VALU_DEP_3) | instskip(SKIP_1) | instid1(VALU_DEP_3)
	v_add_co_u32 v16, vcc_lo, v12, s54
	s_wait_alu 0xfffd
	v_add_co_ci_u32_e64 v17, null, s56, v13, vcc_lo
	v_add3_u32 v15, v15, v11, v18
	s_delay_alu instid0(VALU_DEP_2)
	v_cmp_gt_i64_e32 vcc_lo, s[14:15], v[16:17]
	s_wait_alu 0xfffd
	v_cndmask_b32_e32 v17, s15, v17, vcc_lo
	v_cndmask_b32_e32 v16, s14, v16, vcc_lo
	s_branch .LBB9_9
.LBB9_8:                                ;   in Loop: Header=BB9_9 Depth=2
	s_wait_alu 0xfffe
	s_or_b32 exec_lo, exec_lo, s4
	v_add_nc_u32_e32 v43, s33, v43
	s_delay_alu instid0(VALU_DEP_1) | instskip(SKIP_1) | instid1(SALU_CYCLE_1)
	v_cmp_ge_i32_e32 vcc_lo, v43, v35
	s_or_b32 s64, vcc_lo, s64
	s_and_not1_b32 exec_lo, exec_lo, s64
	s_cbranch_execz .LBB9_5
.LBB9_9:                                ;   Parent Loop BB9_6 Depth=1
                                        ; =>  This Loop Header: Depth=2
                                        ;       Child Loop BB9_14 Depth 3
                                        ;       Child Loop BB9_67 Depth 3
                                        ;         Child Loop BB9_70 Depth 4
                                        ;           Child Loop BB9_73 Depth 5
                                        ;       Child Loop BB9_77 Depth 3
	v_cmp_lt_i64_e32 vcc_lo, 0, v[12:13]
	v_lshrrev_b32_e32 v24, 31, v13
	s_mov_b32 s3, exec_lo
	s_wait_alu 0xfffd
	v_dual_cndmask_b32 v11, 0, v13 :: v_dual_cndmask_b32 v18, 0, v12
	s_delay_alu instid0(VALU_DEP_2) | instskip(SKIP_2) | instid1(VALU_DEP_2)
	v_add_co_u32 v19, vcc_lo, v12, v24
	s_wait_alu 0xfffd
	v_add_co_ci_u32_e64 v20, null, 0, v13, vcc_lo
	v_sub_co_u32 v18, vcc_lo, v18, v19
	s_wait_alu 0xfffd
	s_delay_alu instid0(VALU_DEP_2) | instskip(NEXT) | instid1(VALU_DEP_1)
	v_sub_co_ci_u32_e64 v19, null, v11, v20, vcc_lo
                                        ; implicit-def: $vgpr20_vgpr21
	v_or_b32_e32 v11, s41, v19
	s_delay_alu instid0(VALU_DEP_1)
	v_cmpx_ne_u64_e32 0, v[10:11]
	s_wait_alu 0xfffe
	s_xor_b32 s4, exec_lo, s3
	s_cbranch_execz .LBB9_11
; %bb.10:                               ;   in Loop: Header=BB9_9 Depth=2
	s_cvt_f32_u32 s3, s40
	s_cvt_f32_u32 s5, s41
	s_sub_nc_u64 s[66:67], 0, s[40:41]
	s_wait_alu 0xfffe
	s_delay_alu instid0(SALU_CYCLE_1) | instskip(SKIP_1) | instid1(SALU_CYCLE_2)
	s_fmamk_f32 s3, s5, 0x4f800000, s3
	s_wait_alu 0xfffe
	v_s_rcp_f32 s3, s3
	s_delay_alu instid0(TRANS32_DEP_1) | instskip(SKIP_1) | instid1(SALU_CYCLE_2)
	s_mul_f32 s3, s3, 0x5f7ffffc
	s_wait_alu 0xfffe
	s_mul_f32 s5, s3, 0x2f800000
	s_wait_alu 0xfffe
	s_delay_alu instid0(SALU_CYCLE_2) | instskip(SKIP_1) | instid1(SALU_CYCLE_2)
	s_trunc_f32 s5, s5
	s_wait_alu 0xfffe
	s_fmamk_f32 s3, s5, 0xcf800000, s3
	s_cvt_u32_f32 s7, s5
	s_wait_alu 0xfffe
	s_delay_alu instid0(SALU_CYCLE_1) | instskip(SKIP_1) | instid1(SALU_CYCLE_2)
	s_cvt_u32_f32 s6, s3
	s_wait_alu 0xfffe
	s_mul_u64 s[68:69], s[66:67], s[6:7]
	s_delay_alu instid0(SALU_CYCLE_1)
	s_mul_hi_u32 s71, s6, s69
	s_mul_i32 s70, s6, s69
	s_mul_hi_u32 s8, s6, s68
	s_mul_i32 s5, s7, s68
	s_wait_alu 0xfffe
	s_add_nc_u64 s[70:71], s[8:9], s[70:71]
	s_mul_hi_u32 s3, s7, s68
	s_mul_hi_u32 s65, s7, s69
	s_add_co_u32 s5, s70, s5
	s_wait_alu 0xfffe
	s_add_co_ci_u32 s8, s71, s3
	s_mul_i32 s68, s7, s69
	s_add_co_ci_u32 s69, s65, 0
	s_wait_alu 0xfffe
	s_add_nc_u64 s[68:69], s[8:9], s[68:69]
	s_delay_alu instid0(SALU_CYCLE_1)
	s_add_co_u32 s6, s6, s68
	s_cselect_b32 s3, -1, 0
	s_wait_alu 0xfffe
	s_cmp_lg_u32 s3, 0
	s_add_co_ci_u32 s7, s7, s69
	s_wait_alu 0xfffe
	s_mul_u64 s[66:67], s[66:67], s[6:7]
	s_delay_alu instid0(SALU_CYCLE_1)
	s_mul_hi_u32 s69, s6, s67
	s_mul_i32 s68, s6, s67
	s_mul_hi_u32 s8, s6, s66
	s_mul_i32 s5, s7, s66
	s_wait_alu 0xfffe
	s_add_nc_u64 s[68:69], s[8:9], s[68:69]
	s_mul_hi_u32 s3, s7, s66
	s_mul_hi_u32 s65, s7, s67
	s_add_co_u32 s5, s68, s5
	s_wait_alu 0xfffe
	s_add_co_ci_u32 s8, s69, s3
	s_mul_i32 s66, s7, s67
	s_add_co_ci_u32 s67, s65, 0
	s_wait_alu 0xfffe
	s_add_nc_u64 s[66:67], s[8:9], s[66:67]
	s_delay_alu instid0(SALU_CYCLE_1)
	s_add_co_u32 s3, s6, s66
	s_cselect_b32 s5, -1, 0
	s_wait_alu 0xfffe
	v_mul_hi_u32 v11, v18, s3
	s_cmp_lg_u32 s5, 0
	v_mad_co_u64_u32 v[22:23], null, v19, s3, 0
	s_add_co_ci_u32 s5, s7, s67
	s_wait_alu 0xfffe
	v_mad_co_u64_u32 v[20:21], null, v18, s5, 0
	v_mad_co_u64_u32 v[25:26], null, v19, s5, 0
	s_delay_alu instid0(VALU_DEP_2) | instskip(SKIP_1) | instid1(VALU_DEP_3)
	v_add_co_u32 v11, vcc_lo, v11, v20
	s_wait_alu 0xfffd
	v_add_co_ci_u32_e64 v20, null, 0, v21, vcc_lo
	s_delay_alu instid0(VALU_DEP_2) | instskip(SKIP_1) | instid1(VALU_DEP_2)
	v_add_co_u32 v11, vcc_lo, v11, v22
	s_wait_alu 0xfffd
	v_add_co_ci_u32_e32 v11, vcc_lo, v20, v23, vcc_lo
	s_wait_alu 0xfffd
	v_add_co_ci_u32_e32 v20, vcc_lo, 0, v26, vcc_lo
	s_delay_alu instid0(VALU_DEP_2) | instskip(SKIP_1) | instid1(VALU_DEP_2)
	v_add_co_u32 v11, vcc_lo, v11, v25
	s_wait_alu 0xfffd
	v_add_co_ci_u32_e64 v22, null, 0, v20, vcc_lo
	s_delay_alu instid0(VALU_DEP_2) | instskip(SKIP_1) | instid1(VALU_DEP_3)
	v_mul_lo_u32 v23, s41, v11
	v_mad_co_u64_u32 v[20:21], null, s40, v11, 0
	v_mul_lo_u32 v25, s40, v22
	s_delay_alu instid0(VALU_DEP_2) | instskip(NEXT) | instid1(VALU_DEP_2)
	v_sub_co_u32 v18, vcc_lo, v18, v20
	v_add3_u32 v21, v21, v25, v23
	s_delay_alu instid0(VALU_DEP_1) | instskip(SKIP_2) | instid1(VALU_DEP_2)
	v_sub_nc_u32_e32 v23, v19, v21
	s_wait_alu 0xfffd
	v_sub_co_ci_u32_e64 v19, null, v19, v21, vcc_lo
	v_subrev_co_ci_u32_e64 v20, null, s41, v23, vcc_lo
	v_add_co_u32 v23, s3, v11, 2
	s_wait_alu 0xf1ff
	v_add_co_ci_u32_e64 v25, null, 0, v22, s3
	v_sub_co_u32 v26, s3, v18, s40
	s_wait_alu 0xf1ff
	v_subrev_co_ci_u32_e64 v20, null, 0, v20, s3
	v_cmp_eq_u32_e64 s3, s41, v19
	s_delay_alu instid0(VALU_DEP_3)
	v_cmp_le_u32_e32 vcc_lo, s40, v26
	s_wait_alu 0xfffd
	v_cndmask_b32_e64 v21, 0, -1, vcc_lo
	v_cmp_le_u32_e32 vcc_lo, s41, v20
	s_wait_alu 0xfffd
	v_cndmask_b32_e64 v26, 0, -1, vcc_lo
	;; [unrolled: 3-line block ×4, first 2 shown]
	v_cmp_eq_u32_e32 vcc_lo, s41, v20
	s_wait_alu 0xf1ff
	s_delay_alu instid0(VALU_DEP_2)
	v_cndmask_b32_e64 v18, v27, v18, s3
	s_wait_alu 0xfffd
	v_cndmask_b32_e32 v20, v26, v21, vcc_lo
	v_add_co_u32 v21, vcc_lo, v11, 1
	s_wait_alu 0xfffd
	v_add_co_ci_u32_e64 v26, null, 0, v22, vcc_lo
	s_delay_alu instid0(VALU_DEP_3) | instskip(SKIP_1) | instid1(VALU_DEP_2)
	v_cmp_ne_u32_e32 vcc_lo, 0, v20
	s_wait_alu 0xfffd
	v_dual_cndmask_b32 v19, v26, v25 :: v_dual_cndmask_b32 v20, v21, v23
	v_cmp_ne_u32_e32 vcc_lo, 0, v18
                                        ; implicit-def: $vgpr18
	s_wait_alu 0xfffd
	s_delay_alu instid0(VALU_DEP_2)
	v_dual_cndmask_b32 v21, v22, v19 :: v_dual_cndmask_b32 v20, v11, v20
.LBB9_11:                               ;   in Loop: Header=BB9_9 Depth=2
	s_wait_alu 0xfffe
	s_and_not1_saveexec_b32 s3, s4
	s_cbranch_execz .LBB9_13
; %bb.12:                               ;   in Loop: Header=BB9_9 Depth=2
	v_cvt_f32_u32_e32 v11, s40
	s_sub_co_i32 s4, 0, s40
	v_mov_b32_e32 v21, v10
	s_delay_alu instid0(VALU_DEP_2) | instskip(NEXT) | instid1(TRANS32_DEP_1)
	v_rcp_iflag_f32_e32 v11, v11
	v_mul_f32_e32 v11, 0x4f7ffffe, v11
	s_delay_alu instid0(VALU_DEP_1) | instskip(SKIP_1) | instid1(VALU_DEP_1)
	v_cvt_u32_f32_e32 v11, v11
	s_wait_alu 0xfffe
	v_mul_lo_u32 v19, s4, v11
	s_delay_alu instid0(VALU_DEP_1) | instskip(NEXT) | instid1(VALU_DEP_1)
	v_mul_hi_u32 v19, v11, v19
	v_add_nc_u32_e32 v11, v11, v19
	s_delay_alu instid0(VALU_DEP_1) | instskip(NEXT) | instid1(VALU_DEP_1)
	v_mul_hi_u32 v11, v18, v11
	v_mul_lo_u32 v19, v11, s40
	s_delay_alu instid0(VALU_DEP_1) | instskip(SKIP_1) | instid1(VALU_DEP_2)
	v_sub_nc_u32_e32 v18, v18, v19
	v_add_nc_u32_e32 v19, 1, v11
	v_subrev_nc_u32_e32 v20, s40, v18
	v_cmp_le_u32_e32 vcc_lo, s40, v18
	s_wait_alu 0xfffd
	s_delay_alu instid0(VALU_DEP_2) | instskip(NEXT) | instid1(VALU_DEP_1)
	v_dual_cndmask_b32 v18, v18, v20 :: v_dual_cndmask_b32 v11, v11, v19
	v_cmp_le_u32_e32 vcc_lo, s40, v18
	s_delay_alu instid0(VALU_DEP_2) | instskip(SKIP_1) | instid1(VALU_DEP_1)
	v_add_nc_u32_e32 v19, 1, v11
	s_wait_alu 0xfffd
	v_cndmask_b32_e32 v20, v11, v19, vcc_lo
.LBB9_13:                               ;   in Loop: Header=BB9_9 Depth=2
	s_wait_alu 0xfffe
	s_or_b32 exec_lo, exec_lo, s3
	v_mad_co_i64_i32 v[22:23], null, s39, v43, 0
	v_ashrrev_i32_e32 v11, 31, v43
	s_mov_b32 s3, 0
	s_delay_alu instid0(VALU_DEP_2) | instskip(SKIP_1) | instid1(VALU_DEP_3)
	v_add_co_u32 v18, vcc_lo, s22, v22
	s_wait_alu 0xfffd
	v_add_co_ci_u32_e64 v19, null, s23, v23, vcc_lo
.LBB9_14:                               ;   Parent Loop BB9_6 Depth=1
                                        ;     Parent Loop BB9_9 Depth=2
                                        ; =>    This Inner Loop Header: Depth=3
	s_delay_alu instid0(VALU_DEP_2) | instskip(SKIP_1) | instid1(VALU_DEP_2)
	v_add_co_u32 v18, vcc_lo, v18, s34
	s_wait_alu 0xfffd
	v_add_co_ci_u32_e64 v19, null, s35, v19, vcc_lo
	s_delay_alu instid0(VALU_DEP_1)
	v_cmp_lt_i64_e32 vcc_lo, -1, v[18:19]
	s_wait_alu 0xfffe
	s_or_b32 s3, vcc_lo, s3
	s_wait_alu 0xfffe
	s_and_not1_b32 exec_lo, exec_lo, s3
	s_cbranch_execnz .LBB9_14
; %bb.15:                               ;   in Loop: Header=BB9_9 Depth=2
	s_or_b32 exec_lo, exec_lo, s3
	v_sub_co_u32 v22, vcc_lo, v22, s28
	s_wait_alu 0xfffd
	v_subrev_co_ci_u32_e64 v23, null, s29, v23, vcc_lo
	v_add_co_u32 v24, vcc_lo, v24, v20
	s_wait_alu 0xfffd
	v_add_co_ci_u32_e64 v25, null, 0, v21, vcc_lo
	v_add_co_u32 v20, vcc_lo, v22, s57
	s_wait_alu 0xfffd
	v_add_co_ci_u32_e64 v21, null, s58, v23, vcc_lo
	v_mul_lo_u32 v22, v24, s31
	v_mul_lo_u32 v23, v25, s30
	v_mad_co_u64_u32 v[12:13], null, v24, s30, v[12:13]
	s_delay_alu instid0(VALU_DEP_4) | instskip(SKIP_4) | instid1(VALU_DEP_4)
	v_cmp_gt_i64_e32 vcc_lo, s[16:17], v[20:21]
	s_mov_b32 s3, -1
	s_wait_alu 0xfffd
	v_cndmask_b32_e32 v21, s17, v21, vcc_lo
	v_cndmask_b32_e32 v20, s16, v20, vcc_lo
	v_add3_u32 v13, v23, v13, v22
	s_and_b32 vcc_lo, exec_lo, s59
	s_wait_alu 0xfffe
	s_cbranch_vccnz .LBB9_18
; %bb.16:                               ;   in Loop: Header=BB9_9 Depth=2
	s_and_b32 vcc_lo, exec_lo, s3
	s_wait_alu 0xfffe
	s_cbranch_vccnz .LBB9_64
.LBB9_17:                               ;   in Loop: Header=BB9_9 Depth=2
	s_and_saveexec_b32 s4, s2
	s_cbranch_execz .LBB9_8
	s_branch .LBB9_76
.LBB9_18:                               ;   in Loop: Header=BB9_9 Depth=2
	v_ashrrev_i32_e32 v29, 31, v12
	v_mul_lo_u32 v22, s25, v12
	v_mad_co_u64_u32 v[24:25], null, s24, v12, 0
	v_mov_b32_e32 v28, v12
	s_delay_alu instid0(VALU_DEP_4) | instskip(SKIP_2) | instid1(VALU_DEP_4)
	v_mul_lo_u32 v23, s24, v29
	v_mov_b32_e32 v44, 0
	v_mov_b32_e32 v46, 0
	v_cmp_le_i64_e32 vcc_lo, v[16:17], v[28:29]
	s_delay_alu instid0(VALU_DEP_4) | instskip(SKIP_2) | instid1(VALU_DEP_3)
	v_add3_u32 v25, v25, v23, v22
	v_ashrrev_i32_e32 v23, 31, v18
	v_mov_b32_e32 v22, v18
	v_lshlrev_b64_e32 v[24:25], 1, v[24:25]
	s_delay_alu instid0(VALU_DEP_3) | instskip(NEXT) | instid1(VALU_DEP_3)
	v_mul_lo_u32 v53, s26, v23
	v_cmp_le_i64_e64 s5, v[20:21], v[22:23]
	v_mul_lo_u32 v51, s27, v22
	s_delay_alu instid0(VALU_DEP_4)
	v_add_co_u32 v30, s3, v36, v24
	s_wait_alu 0xf1ff
	v_add_co_ci_u32_e64 v31, null, v37, v25, s3
	s_or_b32 s3, vcc_lo, s5
	s_wait_alu 0xfffe
	s_nor_b32 s3, s3, s1
	s_wait_alu 0xfffe
	s_and_saveexec_b32 s4, s3
	s_cbranch_execz .LBB9_20
; %bb.19:                               ;   in Loop: Header=BB9_9 Depth=2
	v_mad_co_u64_u32 v[24:25], null, s26, v22, 0
	s_delay_alu instid0(VALU_DEP_1) | instskip(NEXT) | instid1(VALU_DEP_1)
	v_add3_u32 v25, v25, v53, v51
	v_lshlrev_b64_e32 v[24:25], 1, v[24:25]
	s_delay_alu instid0(VALU_DEP_1) | instskip(SKIP_1) | instid1(VALU_DEP_2)
	v_add_co_u32 v24, s3, v30, v24
	s_wait_alu 0xf1ff
	v_add_co_ci_u32_e64 v25, null, v31, v25, s3
	global_load_u16 v46, v[24:25], off
.LBB9_20:                               ;   in Loop: Header=BB9_9 Depth=2
	s_wait_alu 0xfffe
	s_or_b32 exec_lo, exec_lo, s4
	v_add_nc_u32_e32 v24, s43, v18
	s_delay_alu instid0(VALU_DEP_1) | instskip(SKIP_1) | instid1(VALU_DEP_2)
	v_ashrrev_i32_e32 v25, 31, v24
	v_mul_lo_u32 v54, s27, v24
	v_cmp_le_i64_e64 s6, v[20:21], v[24:25]
	v_mul_lo_u32 v55, s26, v25
	s_or_b32 s3, vcc_lo, s6
	s_wait_alu 0xfffe
	s_nor_b32 s3, s3, s1
	s_wait_alu 0xfffe
	s_and_saveexec_b32 s4, s3
	s_cbranch_execz .LBB9_22
; %bb.21:                               ;   in Loop: Header=BB9_9 Depth=2
	v_mad_co_u64_u32 v[26:27], null, s26, v24, 0
	s_delay_alu instid0(VALU_DEP_1) | instskip(NEXT) | instid1(VALU_DEP_1)
	v_add3_u32 v27, v27, v55, v54
	v_lshlrev_b64_e32 v[26:27], 1, v[26:27]
	s_delay_alu instid0(VALU_DEP_1) | instskip(SKIP_1) | instid1(VALU_DEP_2)
	v_add_co_u32 v26, s3, v30, v26
	s_wait_alu 0xf1ff
	v_add_co_ci_u32_e64 v27, null, v31, v27, s3
	global_load_u16 v44, v[26:27], off
.LBB9_22:                               ;   in Loop: Header=BB9_9 Depth=2
	s_wait_alu 0xfffe
	s_or_b32 exec_lo, exec_lo, s4
	v_dual_mov_b32 v45, 0 :: v_dual_add_nc_u32 v26, s43, v24
	v_mov_b32_e32 v49, 0
	s_delay_alu instid0(VALU_DEP_2) | instskip(SKIP_1) | instid1(VALU_DEP_2)
	v_ashrrev_i32_e32 v27, 31, v26
	v_mul_lo_u32 v56, s27, v26
	v_cmp_le_i64_e64 s7, v[20:21], v[26:27]
	v_mul_lo_u32 v57, s26, v27
	s_or_b32 s3, vcc_lo, s7
	s_wait_alu 0xfffe
	s_nor_b32 s3, s3, s1
	s_wait_alu 0xfffe
	s_and_saveexec_b32 s4, s3
	s_cbranch_execz .LBB9_24
; %bb.23:                               ;   in Loop: Header=BB9_9 Depth=2
	v_mad_co_u64_u32 v[32:33], null, s26, v26, 0
	s_delay_alu instid0(VALU_DEP_1) | instskip(NEXT) | instid1(VALU_DEP_1)
	v_add3_u32 v33, v33, v57, v56
	v_lshlrev_b64_e32 v[32:33], 1, v[32:33]
	s_delay_alu instid0(VALU_DEP_1) | instskip(SKIP_1) | instid1(VALU_DEP_2)
	v_add_co_u32 v30, s3, v30, v32
	s_wait_alu 0xf1ff
	v_add_co_ci_u32_e64 v31, null, v31, v33, s3
	global_load_u16 v49, v[30:31], off
.LBB9_24:                               ;   in Loop: Header=BB9_9 Depth=2
	s_wait_alu 0xfffe
	s_or_b32 exec_lo, exec_lo, s4
	v_add_nc_u32_e32 v30, s42, v12
	s_delay_alu instid0(VALU_DEP_1) | instskip(SKIP_2) | instid1(VALU_DEP_3)
	v_ashrrev_i32_e32 v31, 31, v30
	v_mul_lo_u32 v47, s25, v30
	v_mad_co_u64_u32 v[32:33], null, s24, v30, 0
	v_mul_lo_u32 v48, s24, v31
	v_cmp_le_i64_e64 s3, v[16:17], v[30:31]
	s_delay_alu instid0(VALU_DEP_2) | instskip(NEXT) | instid1(VALU_DEP_1)
	v_add3_u32 v33, v33, v48, v47
	v_lshlrev_b64_e32 v[32:33], 1, v[32:33]
	s_delay_alu instid0(VALU_DEP_1) | instskip(SKIP_1) | instid1(VALU_DEP_2)
	v_add_co_u32 v32, s4, v36, v32
	s_wait_alu 0xf1ff
	v_add_co_ci_u32_e64 v33, null, v37, v33, s4
	s_or_b32 s4, s3, s5
	s_wait_alu 0xfffe
	s_nor_b32 s4, s4, s1
	s_wait_alu 0xfffe
	s_and_saveexec_b32 s8, s4
	s_cbranch_execz .LBB9_26
; %bb.25:                               ;   in Loop: Header=BB9_9 Depth=2
	v_mad_co_u64_u32 v[47:48], null, s26, v22, 0
	s_delay_alu instid0(VALU_DEP_1) | instskip(NEXT) | instid1(VALU_DEP_1)
	v_add3_u32 v48, v48, v53, v51
	v_lshlrev_b64_e32 v[47:48], 1, v[47:48]
	s_delay_alu instid0(VALU_DEP_1) | instskip(SKIP_1) | instid1(VALU_DEP_2)
	v_add_co_u32 v47, s4, v32, v47
	s_wait_alu 0xf1ff
	v_add_co_ci_u32_e64 v48, null, v33, v48, s4
	global_load_u16 v45, v[47:48], off
.LBB9_26:                               ;   in Loop: Header=BB9_9 Depth=2
	s_wait_alu 0xfffe
	s_or_b32 exec_lo, exec_lo, s8
	v_dual_mov_b32 v47, 0 :: v_dual_mov_b32 v50, 0
	s_or_b32 s4, s3, s6
	s_wait_alu 0xfffe
	s_nor_b32 s4, s4, s1
	s_wait_alu 0xfffe
	s_and_saveexec_b32 s8, s4
	s_cbranch_execz .LBB9_28
; %bb.27:                               ;   in Loop: Header=BB9_9 Depth=2
	v_mad_co_u64_u32 v[58:59], null, s26, v24, 0
	s_delay_alu instid0(VALU_DEP_1) | instskip(NEXT) | instid1(VALU_DEP_1)
	v_add3_u32 v59, v59, v55, v54
	v_lshlrev_b64_e32 v[58:59], 1, v[58:59]
	s_delay_alu instid0(VALU_DEP_1) | instskip(SKIP_1) | instid1(VALU_DEP_2)
	v_add_co_u32 v58, s4, v32, v58
	s_wait_alu 0xf1ff
	v_add_co_ci_u32_e64 v59, null, v33, v59, s4
	global_load_u16 v50, v[58:59], off
.LBB9_28:                               ;   in Loop: Header=BB9_9 Depth=2
	s_wait_alu 0xfffe
	s_or_b32 exec_lo, exec_lo, s8
	s_or_b32 s4, s3, s7
	s_wait_alu 0xfffe
	s_nor_b32 s4, s4, s1
	s_wait_alu 0xfffe
	s_and_saveexec_b32 s8, s4
	s_cbranch_execz .LBB9_30
; %bb.29:                               ;   in Loop: Header=BB9_9 Depth=2
	v_mad_co_u64_u32 v[47:48], null, s26, v26, 0
	s_delay_alu instid0(VALU_DEP_1) | instskip(NEXT) | instid1(VALU_DEP_1)
	v_add3_u32 v48, v48, v57, v56
	v_lshlrev_b64_e32 v[47:48], 1, v[47:48]
	s_delay_alu instid0(VALU_DEP_1) | instskip(SKIP_1) | instid1(VALU_DEP_2)
	v_add_co_u32 v32, s4, v32, v47
	s_wait_alu 0xf1ff
	v_add_co_ci_u32_e64 v33, null, v33, v48, s4
	global_load_u16 v47, v[32:33], off
.LBB9_30:                               ;   in Loop: Header=BB9_9 Depth=2
	s_wait_alu 0xfffe
	s_or_b32 exec_lo, exec_lo, s8
	v_add_nc_u32_e32 v32, s42, v30
	s_delay_alu instid0(VALU_DEP_1) | instskip(SKIP_2) | instid1(VALU_DEP_3)
	v_ashrrev_i32_e32 v33, 31, v32
	v_mul_lo_u32 v48, s25, v32
	v_mad_co_u64_u32 v[58:59], null, s24, v32, 0
	v_mul_lo_u32 v52, s24, v33
	v_cmp_le_i64_e64 s4, v[16:17], v[32:33]
	s_delay_alu instid0(VALU_DEP_2) | instskip(SKIP_2) | instid1(VALU_DEP_3)
	v_add3_u32 v59, v59, v52, v48
	v_mov_b32_e32 v48, 0
	v_mov_b32_e32 v52, 0
	v_lshlrev_b64_e32 v[58:59], 1, v[58:59]
	s_delay_alu instid0(VALU_DEP_1) | instskip(SKIP_1) | instid1(VALU_DEP_2)
	v_add_co_u32 v58, s8, v36, v58
	s_wait_alu 0xf1ff
	v_add_co_ci_u32_e64 v59, null, v37, v59, s8
	s_or_b32 s8, s4, s5
	s_wait_alu 0xfffe
	s_nor_b32 s8, s8, s1
	s_wait_alu 0xfffe
	s_and_saveexec_b32 s65, s8
	s_cbranch_execz .LBB9_32
; %bb.31:                               ;   in Loop: Header=BB9_9 Depth=2
	v_mad_co_u64_u32 v[60:61], null, s26, v22, 0
	s_delay_alu instid0(VALU_DEP_1) | instskip(NEXT) | instid1(VALU_DEP_1)
	v_add3_u32 v61, v61, v53, v51
	v_lshlrev_b64_e32 v[51:52], 1, v[60:61]
	s_delay_alu instid0(VALU_DEP_1) | instskip(SKIP_1) | instid1(VALU_DEP_2)
	v_add_co_u32 v51, s8, v58, v51
	s_wait_alu 0xf1ff
	v_add_co_ci_u32_e64 v52, null, v59, v52, s8
	global_load_u16 v52, v[51:52], off
.LBB9_32:                               ;   in Loop: Header=BB9_9 Depth=2
	s_or_b32 exec_lo, exec_lo, s65
	s_or_b32 s8, s4, s6
	s_wait_alu 0xfffe
	s_nor_b32 s8, s8, s1
	s_wait_alu 0xfffe
	s_and_saveexec_b32 s65, s8
	s_cbranch_execz .LBB9_34
; %bb.33:                               ;   in Loop: Header=BB9_9 Depth=2
	v_mad_co_u64_u32 v[60:61], null, s26, v24, 0
	s_delay_alu instid0(VALU_DEP_1) | instskip(NEXT) | instid1(VALU_DEP_1)
	v_add3_u32 v61, v61, v55, v54
	v_lshlrev_b64_e32 v[53:54], 1, v[60:61]
	s_delay_alu instid0(VALU_DEP_1) | instskip(SKIP_1) | instid1(VALU_DEP_2)
	v_add_co_u32 v53, s8, v58, v53
	s_wait_alu 0xf1ff
	v_add_co_ci_u32_e64 v54, null, v59, v54, s8
	global_load_u16 v48, v[53:54], off
.LBB9_34:                               ;   in Loop: Header=BB9_9 Depth=2
	s_or_b32 exec_lo, exec_lo, s65
	v_mov_b32_e32 v51, 0
	s_or_b32 s8, s4, s7
	s_wait_alu 0xfffe
	s_nor_b32 s8, s8, s1
	s_wait_alu 0xfffe
	s_and_saveexec_b32 s65, s8
	s_cbranch_execz .LBB9_36
; %bb.35:                               ;   in Loop: Header=BB9_9 Depth=2
	v_mad_co_u64_u32 v[53:54], null, s26, v26, 0
	s_delay_alu instid0(VALU_DEP_1) | instskip(NEXT) | instid1(VALU_DEP_1)
	v_add3_u32 v54, v54, v57, v56
	v_lshlrev_b64_e32 v[53:54], 1, v[53:54]
	s_delay_alu instid0(VALU_DEP_1) | instskip(SKIP_1) | instid1(VALU_DEP_2)
	v_add_co_u32 v53, s8, v58, v53
	s_wait_alu 0xf1ff
	v_add_co_ci_u32_e64 v54, null, v59, v54, s8
	global_load_u16 v51, v[53:54], off
.LBB9_36:                               ;   in Loop: Header=BB9_9 Depth=2
	s_or_b32 exec_lo, exec_lo, s65
	v_mul_lo_u32 v53, s17, v28
	v_mul_lo_u32 v54, s16, v29
	v_mad_co_u64_u32 v[28:29], null, s16, v28, 0
	s_or_b32 s65, s1, s5
	s_delay_alu instid0(SALU_CYCLE_1)
	s_nor_b32 s5, vcc_lo, s65
	v_add3_u32 v29, v29, v54, v53
	s_wait_alu 0xfffe
	s_and_saveexec_b32 s66, s5
	s_cbranch_execz .LBB9_39
; %bb.37:                               ;   in Loop: Header=BB9_9 Depth=2
	ds_load_u16 v53, v38
	s_wait_loadcnt 0x0
	v_cmp_u_f16_e64 s8, v46, v46
	s_wait_dscnt 0x0
	v_cmp_lt_f16_e64 s5, v53, v46
	s_or_b32 s5, s5, s8
	s_wait_alu 0xfffe
	s_and_b32 exec_lo, exec_lo, s5
	s_cbranch_execz .LBB9_39
; %bb.38:                               ;   in Loop: Header=BB9_9 Depth=2
	v_add_co_u32 v53, s5, v28, v22
	s_wait_alu 0xf1ff
	v_add_co_ci_u32_e64 v54, null, v29, v23, s5
	ds_store_b16 v38, v46
	ds_store_b64 v39, v[53:54]
.LBB9_39:                               ;   in Loop: Header=BB9_9 Depth=2
	s_or_b32 exec_lo, exec_lo, s66
	s_or_b32 s8, s1, s6
	s_wait_alu 0xfffe
	s_nor_b32 s5, vcc_lo, s8
	s_wait_alu 0xfffe
	s_and_saveexec_b32 s66, s5
	s_cbranch_execz .LBB9_42
; %bb.40:                               ;   in Loop: Header=BB9_9 Depth=2
	s_wait_loadcnt 0x0
	ds_load_u16 v46, v38
	v_cmp_u_f16_e64 s6, v44, v44
	s_wait_dscnt 0x0
	v_cmp_lt_f16_e64 s5, v46, v44
	s_or_b32 s5, s5, s6
	s_wait_alu 0xfffe
	s_and_b32 exec_lo, exec_lo, s5
	s_cbranch_execz .LBB9_42
; %bb.41:                               ;   in Loop: Header=BB9_9 Depth=2
	v_add_co_u32 v53, s5, v28, v24
	s_wait_alu 0xf1ff
	v_add_co_ci_u32_e64 v54, null, v29, v25, s5
	ds_store_b16 v38, v44
	ds_store_b64 v39, v[53:54]
.LBB9_42:                               ;   in Loop: Header=BB9_9 Depth=2
	s_or_b32 exec_lo, exec_lo, s66
	s_or_b32 s6, s1, s7
	s_wait_alu 0xfffe
	s_nor_b32 s5, vcc_lo, s6
	s_wait_alu 0xfffe
	s_and_saveexec_b32 s7, s5
	s_cbranch_execz .LBB9_45
; %bb.43:                               ;   in Loop: Header=BB9_9 Depth=2
	s_wait_loadcnt 0x0
	ds_load_u16 v44, v38
	v_cmp_u_f16_e64 s5, v49, v49
	s_wait_dscnt 0x0
	v_cmp_lt_f16_e32 vcc_lo, v44, v49
	s_or_b32 s5, vcc_lo, s5
	s_wait_alu 0xfffe
	s_and_b32 exec_lo, exec_lo, s5
	s_cbranch_execz .LBB9_45
; %bb.44:                               ;   in Loop: Header=BB9_9 Depth=2
	v_add_co_u32 v28, vcc_lo, v28, v26
	s_wait_alu 0xfffd
	v_add_co_ci_u32_e64 v29, null, v29, v27, vcc_lo
	ds_store_b16 v38, v49
	ds_store_b64 v39, v[28:29]
.LBB9_45:                               ;   in Loop: Header=BB9_9 Depth=2
	s_wait_alu 0xfffe
	s_or_b32 exec_lo, exec_lo, s7
	s_wait_loadcnt 0x0
	v_mul_lo_u32 v44, s17, v30
	v_mul_lo_u32 v31, s16, v31
	v_mad_co_u64_u32 v[28:29], null, s16, v30, 0
	s_nor_b32 s5, s3, s65
	v_add3_u32 v29, v29, v31, v44
	s_wait_alu 0xfffe
	s_and_saveexec_b32 s7, s5
	s_cbranch_execz .LBB9_48
; %bb.46:                               ;   in Loop: Header=BB9_9 Depth=2
	ds_load_u16 v30, v38
	v_cmp_u_f16_e64 s5, v45, v45
	s_wait_dscnt 0x0
	v_cmp_lt_f16_e32 vcc_lo, v30, v45
	s_or_b32 s5, vcc_lo, s5
	s_wait_alu 0xfffe
	s_and_b32 exec_lo, exec_lo, s5
	s_cbranch_execz .LBB9_48
; %bb.47:                               ;   in Loop: Header=BB9_9 Depth=2
	v_add_co_u32 v30, vcc_lo, v28, v22
	s_wait_alu 0xfffd
	v_add_co_ci_u32_e64 v31, null, v29, v23, vcc_lo
	ds_store_b16 v38, v45
	ds_store_b64 v39, v[30:31]
.LBB9_48:                               ;   in Loop: Header=BB9_9 Depth=2
	s_wait_alu 0xfffe
	s_or_b32 exec_lo, exec_lo, s7
	s_nor_b32 s5, s3, s8
	s_wait_alu 0xfffe
	s_and_saveexec_b32 s7, s5
	s_cbranch_execz .LBB9_51
; %bb.49:                               ;   in Loop: Header=BB9_9 Depth=2
	ds_load_u16 v30, v38
	v_cmp_u_f16_e64 s5, v50, v50
	s_wait_dscnt 0x0
	v_cmp_lt_f16_e32 vcc_lo, v30, v50
	s_or_b32 s5, vcc_lo, s5
	s_wait_alu 0xfffe
	s_and_b32 exec_lo, exec_lo, s5
	s_cbranch_execz .LBB9_51
; %bb.50:                               ;   in Loop: Header=BB9_9 Depth=2
	v_add_co_u32 v30, vcc_lo, v28, v24
	s_wait_alu 0xfffd
	v_add_co_ci_u32_e64 v31, null, v29, v25, vcc_lo
	ds_store_b16 v38, v50
	ds_store_b64 v39, v[30:31]
.LBB9_51:                               ;   in Loop: Header=BB9_9 Depth=2
	s_wait_alu 0xfffe
	s_or_b32 exec_lo, exec_lo, s7
	s_nor_b32 s3, s3, s6
	s_wait_alu 0xfffe
	s_and_saveexec_b32 s5, s3
	s_cbranch_execz .LBB9_54
; %bb.52:                               ;   in Loop: Header=BB9_9 Depth=2
	ds_load_u16 v30, v38
	v_cmp_u_f16_e64 s3, v47, v47
	s_wait_dscnt 0x0
	v_cmp_lt_f16_e32 vcc_lo, v30, v47
	s_or_b32 s3, vcc_lo, s3
	s_wait_alu 0xfffe
	s_and_b32 exec_lo, exec_lo, s3
	s_cbranch_execz .LBB9_54
; %bb.53:                               ;   in Loop: Header=BB9_9 Depth=2
	v_add_co_u32 v28, vcc_lo, v28, v26
	s_wait_alu 0xfffd
	v_add_co_ci_u32_e64 v29, null, v29, v27, vcc_lo
	ds_store_b16 v38, v47
	ds_store_b64 v39, v[28:29]
.LBB9_54:                               ;   in Loop: Header=BB9_9 Depth=2
	s_wait_alu 0xfffe
	s_or_b32 exec_lo, exec_lo, s5
	v_mul_lo_u32 v30, s17, v32
	v_mul_lo_u32 v31, s16, v33
	v_mad_co_u64_u32 v[28:29], null, s16, v32, 0
	s_nor_b32 s3, s4, s65
	v_add3_u32 v29, v29, v31, v30
	s_wait_alu 0xfffe
	s_and_saveexec_b32 s5, s3
	s_cbranch_execz .LBB9_57
; %bb.55:                               ;   in Loop: Header=BB9_9 Depth=2
	ds_load_u16 v30, v38
	v_cmp_u_f16_e64 s3, v52, v52
	s_wait_dscnt 0x0
	v_cmp_lt_f16_e32 vcc_lo, v30, v52
	s_or_b32 s3, vcc_lo, s3
	s_wait_alu 0xfffe
	s_and_b32 exec_lo, exec_lo, s3
	s_cbranch_execz .LBB9_57
; %bb.56:                               ;   in Loop: Header=BB9_9 Depth=2
	v_add_co_u32 v22, vcc_lo, v28, v22
	s_wait_alu 0xfffd
	v_add_co_ci_u32_e64 v23, null, v29, v23, vcc_lo
	ds_store_b16 v38, v52
	ds_store_b64 v39, v[22:23]
.LBB9_57:                               ;   in Loop: Header=BB9_9 Depth=2
	s_wait_alu 0xfffe
	s_or_b32 exec_lo, exec_lo, s5
	s_nor_b32 s3, s4, s8
	s_wait_alu 0xfffe
	s_and_saveexec_b32 s5, s3
	s_cbranch_execz .LBB9_60
; %bb.58:                               ;   in Loop: Header=BB9_9 Depth=2
	ds_load_u16 v22, v38
	v_cmp_u_f16_e64 s3, v48, v48
	s_wait_dscnt 0x0
	v_cmp_lt_f16_e32 vcc_lo, v22, v48
	s_or_b32 s3, vcc_lo, s3
	s_wait_alu 0xfffe
	s_and_b32 exec_lo, exec_lo, s3
	s_cbranch_execz .LBB9_60
; %bb.59:                               ;   in Loop: Header=BB9_9 Depth=2
	v_add_co_u32 v22, vcc_lo, v28, v24
	s_wait_alu 0xfffd
	v_add_co_ci_u32_e64 v23, null, v29, v25, vcc_lo
	ds_store_b16 v38, v48
	ds_store_b64 v39, v[22:23]
.LBB9_60:                               ;   in Loop: Header=BB9_9 Depth=2
	s_wait_alu 0xfffe
	s_or_b32 exec_lo, exec_lo, s5
	s_nor_b32 s3, s4, s6
	s_wait_alu 0xfffe
	s_and_saveexec_b32 s4, s3
	s_cbranch_execz .LBB9_63
; %bb.61:                               ;   in Loop: Header=BB9_9 Depth=2
	ds_load_u16 v22, v38
	v_cmp_u_f16_e64 s3, v51, v51
	s_wait_dscnt 0x0
	v_cmp_lt_f16_e32 vcc_lo, v22, v51
	s_or_b32 s3, vcc_lo, s3
	s_wait_alu 0xfffe
	s_and_b32 exec_lo, exec_lo, s3
	s_cbranch_execz .LBB9_63
; %bb.62:                               ;   in Loop: Header=BB9_9 Depth=2
	v_add_co_u32 v22, vcc_lo, v28, v26
	s_wait_alu 0xfffd
	v_add_co_ci_u32_e64 v23, null, v29, v27, vcc_lo
	ds_store_b16 v38, v51
	ds_store_b64 v39, v[22:23]
.LBB9_63:                               ;   in Loop: Header=BB9_9 Depth=2
	s_wait_alu 0xfffe
	s_or_b32 exec_lo, exec_lo, s4
	s_branch .LBB9_17
.LBB9_64:                               ;   in Loop: Header=BB9_9 Depth=2
	s_mov_b32 s5, exec_lo
	v_cmpx_lt_i64_e64 v[12:13], v[16:17]
	s_cbranch_execz .LBB9_75
; %bb.65:                               ;   in Loop: Header=BB9_9 Depth=2
	v_dual_mov_b32 v23, v13 :: v_dual_mov_b32 v22, v12
	s_mov_b32 s6, 0
	v_cmp_lt_i64_e32 vcc_lo, v[18:19], v[20:21]
	s_branch .LBB9_67
.LBB9_66:                               ;   in Loop: Header=BB9_67 Depth=3
	s_wait_alu 0xfffe
	s_or_b32 exec_lo, exec_lo, s7
	v_add_co_u32 v22, s3, v22, s30
	s_wait_alu 0xf1ff
	v_add_co_ci_u32_e64 v23, null, s31, v23, s3
	s_delay_alu instid0(VALU_DEP_1)
	v_cmp_ge_i64_e64 s3, v[22:23], v[16:17]
	s_or_b32 s6, s3, s6
	s_wait_alu 0xfffe
	s_and_not1_b32 exec_lo, exec_lo, s6
	s_cbranch_execz .LBB9_75
.LBB9_67:                               ;   Parent Loop BB9_6 Depth=1
                                        ;     Parent Loop BB9_9 Depth=2
                                        ; =>    This Loop Header: Depth=3
                                        ;         Child Loop BB9_70 Depth 4
                                        ;           Child Loop BB9_73 Depth 5
	s_and_saveexec_b32 s7, vcc_lo
	s_cbranch_execz .LBB9_66
; %bb.68:                               ;   in Loop: Header=BB9_67 Depth=3
	v_mul_lo_u32 v24, v23, s24
	v_mul_lo_u32 v25, v22, s25
	v_mad_co_u64_u32 v[26:27], null, v22, s24, 0
	v_mul_lo_u32 v28, v23, s16
	v_mul_lo_u32 v29, v22, s17
	s_mov_b32 s8, 0
	s_delay_alu instid0(VALU_DEP_3) | instskip(SKIP_1) | instid1(VALU_DEP_2)
	v_add3_u32 v27, v27, v25, v24
	v_mad_co_u64_u32 v[24:25], null, v22, s16, 0
	v_lshlrev_b64_e32 v[26:27], 1, v[26:27]
	s_delay_alu instid0(VALU_DEP_2) | instskip(NEXT) | instid1(VALU_DEP_2)
	v_add3_u32 v25, v25, v29, v28
	v_add_co_u32 v44, s3, s20, v26
	s_wait_alu 0xf1ff
	s_delay_alu instid0(VALU_DEP_3)
	v_add_co_ci_u32_e64 v45, null, s21, v27, s3
	v_dual_mov_b32 v27, v19 :: v_dual_mov_b32 v26, v18
	s_branch .LBB9_70
.LBB9_69:                               ;   in Loop: Header=BB9_70 Depth=4
	s_or_b32 exec_lo, exec_lo, s65
	v_add_co_u32 v26, s3, v26, s34
	s_wait_alu 0xf1ff
	v_add_co_ci_u32_e64 v27, null, s35, v27, s3
	s_delay_alu instid0(VALU_DEP_1)
	v_cmp_ge_i64_e64 s3, v[26:27], v[20:21]
	s_wait_alu 0xfffe
	s_or_b32 s8, s3, s8
	s_wait_alu 0xfffe
	s_and_not1_b32 exec_lo, exec_lo, s8
	s_cbranch_execz .LBB9_66
.LBB9_70:                               ;   Parent Loop BB9_6 Depth=1
                                        ;     Parent Loop BB9_9 Depth=2
                                        ;       Parent Loop BB9_67 Depth=3
                                        ; =>      This Loop Header: Depth=4
                                        ;           Child Loop BB9_73 Depth 5
	s_and_saveexec_b32 s65, s2
	s_cbranch_execz .LBB9_69
; %bb.71:                               ;   in Loop: Header=BB9_70 Depth=4
	s_delay_alu instid0(VALU_DEP_1) | instskip(SKIP_4) | instid1(VALU_DEP_2)
	v_mul_lo_u32 v30, v27, s26
	v_mul_lo_u32 v31, v26, s27
	v_mad_co_u64_u32 v[28:29], null, v26, s26, 0
	v_dual_mov_b32 v46, v41 :: v_dual_mov_b32 v47, v40
	s_mov_b32 s66, 0
	v_add3_u32 v29, v29, v31, v30
	v_dual_mov_b32 v31, v5 :: v_dual_mov_b32 v30, v4
	s_delay_alu instid0(VALU_DEP_2) | instskip(SKIP_3) | instid1(VALU_DEP_3)
	v_lshlrev_b64_e32 v[32:33], 1, v[28:29]
	v_add_co_u32 v28, s3, v26, v24
	s_wait_alu 0xf1ff
	v_add_co_ci_u32_e64 v29, null, v27, v25, s3
	v_add_co_u32 v48, s3, v44, v32
	s_wait_alu 0xf1ff
	v_add_co_ci_u32_e64 v49, null, v45, v33, s3
	v_dual_mov_b32 v33, v3 :: v_dual_mov_b32 v32, v2
	s_branch .LBB9_73
.LBB9_72:                               ;   in Loop: Header=BB9_73 Depth=5
	s_wait_alu 0xfffe
	s_or_b32 exec_lo, exec_lo, s3
	v_add_co_u32 v32, s3, v32, s36
	s_wait_alu 0xf1ff
	v_add_co_ci_u32_e64 v33, null, s37, v33, s3
	v_add_co_u32 v30, s4, v30, s44
	s_wait_alu 0xf1ff
	v_add_co_ci_u32_e64 v31, null, s45, v31, s4
	s_delay_alu instid0(VALU_DEP_3) | instskip(SKIP_3) | instid1(SALU_CYCLE_1)
	v_cmp_le_i64_e64 s3, s[12:13], v[32:33]
	v_add_nc_u32_e32 v47, s60, v47
	v_add_nc_u32_e32 v46, s61, v46
	s_or_b32 s66, s3, s66
	s_and_not1_b32 exec_lo, exec_lo, s66
	s_cbranch_execz .LBB9_69
.LBB9_73:                               ;   Parent Loop BB9_6 Depth=1
                                        ;     Parent Loop BB9_9 Depth=2
                                        ;       Parent Loop BB9_67 Depth=3
                                        ;         Parent Loop BB9_70 Depth=4
                                        ; =>        This Inner Loop Header: Depth=5
	v_lshlrev_b64_e32 v[50:51], 1, v[30:31]
	s_delay_alu instid0(VALU_DEP_1) | instskip(SKIP_1) | instid1(VALU_DEP_2)
	v_add_co_u32 v50, s3, v48, v50
	s_wait_alu 0xf1ff
	v_add_co_ci_u32_e64 v51, null, v49, v51, s3
	global_load_u16 v50, v[50:51], off
	ds_load_u16 v51, v47
	s_wait_loadcnt_dscnt 0x0
	v_cmp_lt_f16_e64 s3, v51, v50
	v_cmp_u_f16_e64 s4, v50, v50
	s_or_b32 s4, s3, s4
	s_wait_alu 0xfffe
	s_and_saveexec_b32 s3, s4
	s_cbranch_execz .LBB9_72
; %bb.74:                               ;   in Loop: Header=BB9_73 Depth=5
	ds_store_b16 v47, v50
	ds_store_b64 v46, v[28:29]
	s_branch .LBB9_72
.LBB9_75:                               ;   in Loop: Header=BB9_9 Depth=2
	s_wait_alu 0xfffe
	s_or_b32 exec_lo, exec_lo, s5
	s_and_saveexec_b32 s4, s2
	s_cbranch_execz .LBB9_8
.LBB9_76:                               ;   in Loop: Header=BB9_9 Depth=2
	v_add_co_u32 v18, vcc_lo, v14, v43
	s_wait_alu 0xfffd
	v_add_co_ci_u32_e64 v19, null, v15, v11, vcc_lo
	v_mov_b32_e32 v24, v41
	s_mov_b32 s5, 0
	s_delay_alu instid0(VALU_DEP_2) | instskip(SKIP_1) | instid1(VALU_DEP_2)
	v_lshlrev_b64_e32 v[20:21], 3, v[18:19]
	v_lshlrev_b64_e32 v[18:19], 1, v[18:19]
	v_add_co_u32 v11, vcc_lo, s18, v20
	s_wait_alu 0xfffd
	s_delay_alu instid0(VALU_DEP_3) | instskip(NEXT) | instid1(VALU_DEP_3)
	v_add_co_ci_u32_e64 v20, null, s19, v21, vcc_lo
	v_add_co_u32 v21, vcc_lo, s48, v18
	s_wait_alu 0xfffd
	v_add_co_ci_u32_e64 v22, null, s49, v19, vcc_lo
	s_delay_alu instid0(VALU_DEP_3) | instskip(SKIP_2) | instid1(VALU_DEP_4)
	v_mul_lo_u32 v23, s12, v20
	v_mul_lo_u32 v25, s13, v11
	v_mad_co_u64_u32 v[18:19], null, s12, v11, v[6:7]
	v_mul_lo_u32 v11, s12, v22
	v_mul_lo_u32 v22, s13, v21
	v_mad_co_u64_u32 v[20:21], null, s12, v21, v[8:9]
	s_delay_alu instid0(VALU_DEP_4) | instskip(SKIP_1) | instid1(VALU_DEP_3)
	v_add3_u32 v19, v25, v19, v23
	v_mov_b32_e32 v25, v40
	v_add3_u32 v21, v22, v21, v11
	v_dual_mov_b32 v23, v3 :: v_dual_mov_b32 v22, v2
.LBB9_77:                               ;   Parent Loop BB9_6 Depth=1
                                        ;     Parent Loop BB9_9 Depth=2
                                        ; =>    This Inner Loop Header: Depth=3
	ds_load_u16 v28, v25
	ds_load_b64 v[26:27], v24
	v_add_co_u32 v22, vcc_lo, v22, s36
	v_mov_b32_e32 v11, v10
	s_wait_alu 0xfffd
	v_add_co_ci_u32_e64 v23, null, s37, v23, vcc_lo
	ds_store_b16 v25, v42
	v_add_nc_u32_e32 v25, s60, v25
	ds_store_b64 v24, v[10:11]
	v_cmp_le_i64_e32 vcc_lo, s[12:13], v[22:23]
	v_add_nc_u32_e32 v24, s61, v24
	s_wait_dscnt 0x3
	global_store_b16 v[20:21], v28, off
	s_wait_dscnt 0x2
	global_store_b64 v[18:19], v[26:27], off
	v_add_co_u32 v18, s3, v18, s46
	s_wait_alu 0xf1ff
	v_add_co_ci_u32_e64 v19, null, s47, v19, s3
	v_add_co_u32 v20, s3, v20, s50
	s_wait_alu 0xf1ff
	v_add_co_ci_u32_e64 v21, null, s51, v21, s3
	s_wait_alu 0xfffe
	s_or_b32 s5, vcc_lo, s5
	s_wait_alu 0xfffe
	s_and_not1_b32 exec_lo, exec_lo, s5
	s_cbranch_execnz .LBB9_77
	s_branch .LBB9_8
.LBB9_78:
	s_endpgm
	.section	.rodata,"a",@progbits
	.p2align	6, 0x0
	.amdhsa_kernel _ZN2at6native12_GLOBAL__N_121max_pool_forward_nhwcIN3c104HalfElEEvPKT_iT0_S8_S8_S8_S8_iiiiiiiiS8_S8_S8_S8_iiPS5_Pl
		.amdhsa_group_segment_fixed_size 0
		.amdhsa_private_segment_fixed_size 0
		.amdhsa_kernarg_size 400
		.amdhsa_user_sgpr_count 2
		.amdhsa_user_sgpr_dispatch_ptr 0
		.amdhsa_user_sgpr_queue_ptr 0
		.amdhsa_user_sgpr_kernarg_segment_ptr 1
		.amdhsa_user_sgpr_dispatch_id 0
		.amdhsa_user_sgpr_private_segment_size 0
		.amdhsa_wavefront_size32 1
		.amdhsa_uses_dynamic_stack 0
		.amdhsa_enable_private_segment 0
		.amdhsa_system_sgpr_workgroup_id_x 1
		.amdhsa_system_sgpr_workgroup_id_y 1
		.amdhsa_system_sgpr_workgroup_id_z 1
		.amdhsa_system_sgpr_workgroup_info 0
		.amdhsa_system_vgpr_workitem_id 2
		.amdhsa_next_free_vgpr 62
		.amdhsa_next_free_sgpr 72
		.amdhsa_reserve_vcc 1
		.amdhsa_float_round_mode_32 0
		.amdhsa_float_round_mode_16_64 0
		.amdhsa_float_denorm_mode_32 3
		.amdhsa_float_denorm_mode_16_64 3
		.amdhsa_fp16_overflow 0
		.amdhsa_workgroup_processor_mode 1
		.amdhsa_memory_ordered 1
		.amdhsa_forward_progress 1
		.amdhsa_inst_pref_size 46
		.amdhsa_round_robin_scheduling 0
		.amdhsa_exception_fp_ieee_invalid_op 0
		.amdhsa_exception_fp_denorm_src 0
		.amdhsa_exception_fp_ieee_div_zero 0
		.amdhsa_exception_fp_ieee_overflow 0
		.amdhsa_exception_fp_ieee_underflow 0
		.amdhsa_exception_fp_ieee_inexact 0
		.amdhsa_exception_int_div_zero 0
	.end_amdhsa_kernel
	.section	.text._ZN2at6native12_GLOBAL__N_121max_pool_forward_nhwcIN3c104HalfElEEvPKT_iT0_S8_S8_S8_S8_iiiiiiiiS8_S8_S8_S8_iiPS5_Pl,"axG",@progbits,_ZN2at6native12_GLOBAL__N_121max_pool_forward_nhwcIN3c104HalfElEEvPKT_iT0_S8_S8_S8_S8_iiiiiiiiS8_S8_S8_S8_iiPS5_Pl,comdat
.Lfunc_end9:
	.size	_ZN2at6native12_GLOBAL__N_121max_pool_forward_nhwcIN3c104HalfElEEvPKT_iT0_S8_S8_S8_S8_iiiiiiiiS8_S8_S8_S8_iiPS5_Pl, .Lfunc_end9-_ZN2at6native12_GLOBAL__N_121max_pool_forward_nhwcIN3c104HalfElEEvPKT_iT0_S8_S8_S8_S8_iiiiiiiiS8_S8_S8_S8_iiPS5_Pl
                                        ; -- End function
	.set _ZN2at6native12_GLOBAL__N_121max_pool_forward_nhwcIN3c104HalfElEEvPKT_iT0_S8_S8_S8_S8_iiiiiiiiS8_S8_S8_S8_iiPS5_Pl.num_vgpr, 62
	.set _ZN2at6native12_GLOBAL__N_121max_pool_forward_nhwcIN3c104HalfElEEvPKT_iT0_S8_S8_S8_S8_iiiiiiiiS8_S8_S8_S8_iiPS5_Pl.num_agpr, 0
	.set _ZN2at6native12_GLOBAL__N_121max_pool_forward_nhwcIN3c104HalfElEEvPKT_iT0_S8_S8_S8_S8_iiiiiiiiS8_S8_S8_S8_iiPS5_Pl.numbered_sgpr, 72
	.set _ZN2at6native12_GLOBAL__N_121max_pool_forward_nhwcIN3c104HalfElEEvPKT_iT0_S8_S8_S8_S8_iiiiiiiiS8_S8_S8_S8_iiPS5_Pl.num_named_barrier, 0
	.set _ZN2at6native12_GLOBAL__N_121max_pool_forward_nhwcIN3c104HalfElEEvPKT_iT0_S8_S8_S8_S8_iiiiiiiiS8_S8_S8_S8_iiPS5_Pl.private_seg_size, 0
	.set _ZN2at6native12_GLOBAL__N_121max_pool_forward_nhwcIN3c104HalfElEEvPKT_iT0_S8_S8_S8_S8_iiiiiiiiS8_S8_S8_S8_iiPS5_Pl.uses_vcc, 1
	.set _ZN2at6native12_GLOBAL__N_121max_pool_forward_nhwcIN3c104HalfElEEvPKT_iT0_S8_S8_S8_S8_iiiiiiiiS8_S8_S8_S8_iiPS5_Pl.uses_flat_scratch, 0
	.set _ZN2at6native12_GLOBAL__N_121max_pool_forward_nhwcIN3c104HalfElEEvPKT_iT0_S8_S8_S8_S8_iiiiiiiiS8_S8_S8_S8_iiPS5_Pl.has_dyn_sized_stack, 0
	.set _ZN2at6native12_GLOBAL__N_121max_pool_forward_nhwcIN3c104HalfElEEvPKT_iT0_S8_S8_S8_S8_iiiiiiiiS8_S8_S8_S8_iiPS5_Pl.has_recursion, 0
	.set _ZN2at6native12_GLOBAL__N_121max_pool_forward_nhwcIN3c104HalfElEEvPKT_iT0_S8_S8_S8_S8_iiiiiiiiS8_S8_S8_S8_iiPS5_Pl.has_indirect_call, 0
	.section	.AMDGPU.csdata,"",@progbits
; Kernel info:
; codeLenInByte = 5832
; TotalNumSgprs: 74
; NumVgprs: 62
; ScratchSize: 0
; MemoryBound: 0
; FloatMode: 240
; IeeeMode: 1
; LDSByteSize: 0 bytes/workgroup (compile time only)
; SGPRBlocks: 0
; VGPRBlocks: 7
; NumSGPRsForWavesPerEU: 74
; NumVGPRsForWavesPerEU: 62
; Occupancy: 16
; WaveLimiterHint : 1
; COMPUTE_PGM_RSRC2:SCRATCH_EN: 0
; COMPUTE_PGM_RSRC2:USER_SGPR: 2
; COMPUTE_PGM_RSRC2:TRAP_HANDLER: 0
; COMPUTE_PGM_RSRC2:TGID_X_EN: 1
; COMPUTE_PGM_RSRC2:TGID_Y_EN: 1
; COMPUTE_PGM_RSRC2:TGID_Z_EN: 1
; COMPUTE_PGM_RSRC2:TIDIG_COMP_CNT: 2
	.section	.text._ZN2at6native12_GLOBAL__N_121max_pool_forward_nchwIN3c104HalfEiEEvT0_PKT_llliiiiiiiiiiPS6_Pl,"axG",@progbits,_ZN2at6native12_GLOBAL__N_121max_pool_forward_nchwIN3c104HalfEiEEvT0_PKT_llliiiiiiiiiiPS6_Pl,comdat
	.globl	_ZN2at6native12_GLOBAL__N_121max_pool_forward_nchwIN3c104HalfEiEEvT0_PKT_llliiiiiiiiiiPS6_Pl ; -- Begin function _ZN2at6native12_GLOBAL__N_121max_pool_forward_nchwIN3c104HalfEiEEvT0_PKT_llliiiiiiiiiiPS6_Pl
	.p2align	8
	.type	_ZN2at6native12_GLOBAL__N_121max_pool_forward_nchwIN3c104HalfEiEEvT0_PKT_llliiiiiiiiiiPS6_Pl,@function
_ZN2at6native12_GLOBAL__N_121max_pool_forward_nchwIN3c104HalfEiEEvT0_PKT_llliiiiiiiiiiPS6_Pl: ; @_ZN2at6native12_GLOBAL__N_121max_pool_forward_nchwIN3c104HalfEiEEvT0_PKT_llliiiiiiiiiiPS6_Pl
; %bb.0:
	s_clause 0x1
	s_load_b32 s2, s[0:1], 0x6c
	s_load_b32 s20, s[0:1], 0x0
	v_mov_b32_e32 v1, 0
	s_mov_b32 s3, exec_lo
	s_wait_kmcnt 0x0
	s_and_b32 s2, s2, 0xffff
	s_ashr_i32 s21, s20, 31
	v_mad_co_u64_u32 v[0:1], null, s2, ttmp9, v[0:1]
	s_delay_alu instid0(VALU_DEP_1)
	v_cmpx_gt_i64_e64 s[20:21], v[0:1]
	s_cbranch_execz .LBB10_11
; %bb.1:
	s_clause 0x1
	s_load_b256 s[4:11], s[0:1], 0x28
	s_load_b64 s[22:23], s[0:1], 0x48
	s_add_nc_u64 s[26:27], s[0:1], 0x60
	s_clause 0x2
	s_load_b64 s[24:25], s[0:1], 0x8
	s_load_b128 s[12:15], s[0:1], 0x18
	s_load_b128 s[16:19], s[0:1], 0x50
	s_load_b32 s0, s[26:27], 0x0
	s_mov_b32 s3, 0
	s_wait_kmcnt 0x0
	s_add_co_i32 s1, s6, -1
	s_add_co_i32 s6, s7, -1
	s_abs_i32 s34, s5
	s_abs_i32 s36, s4
	s_max_u32 s30, s22, 1
	s_wait_alu 0xfffe
	s_mul_i32 s38, s22, s1
	s_mul_i32 s39, s23, s6
	s_cvt_f32_u32 s1, s34
	s_cvt_f32_u32 s6, s36
	s_max_u32 s31, s23, 1
	s_cvt_f32_u32 s7, s30
	s_cvt_f32_u32 s26, s31
	s_wait_alu 0xfffe
	v_rcp_iflag_f32_e32 v2, s1
	v_rcp_iflag_f32_e32 v3, s6
	;; [unrolled: 1-line block ×4, first 2 shown]
	s_mul_i32 s37, s0, s2
	s_sub_co_i32 s0, 0, s34
	s_sub_co_i32 s1, 0, s36
	s_sub_co_i32 s2, 0, s30
	s_sub_co_i32 s6, 0, s31
	s_ashr_i32 s29, s23, 31
	v_readfirstlane_b32 s7, v2
	v_readfirstlane_b32 s26, v3
	;; [unrolled: 1-line block ×4, first 2 shown]
	s_ashr_i32 s33, s5, 31
	s_mul_f32 s7, s7, 0x4f7ffffe
	s_mul_f32 s26, s26, 0x4f7ffffe
	;; [unrolled: 1-line block ×4, first 2 shown]
	s_wait_alu 0xfffe
	s_cvt_u32_f32 s7, s7
	s_cvt_u32_f32 s26, s26
	;; [unrolled: 1-line block ×4, first 2 shown]
	s_wait_alu 0xfffe
	s_mul_i32 s0, s0, s7
	s_mul_i32 s1, s1, s26
	;; [unrolled: 1-line block ×3, first 2 shown]
	s_wait_alu 0xfffe
	s_mul_hi_u32 s0, s7, s0
	s_mul_hi_u32 s1, s26, s1
	s_mul_i32 s6, s6, s28
	s_mul_hi_u32 s2, s27, s2
	s_wait_alu 0xfffe
	s_add_co_i32 s40, s7, s0
	s_add_co_i32 s41, s26, s1
	s_mul_u64 s[0:1], s[14:15], s[12:13]
	s_add_co_i32 s42, s27, s2
	s_mul_hi_u32 s2, s28, s6
	s_wait_alu 0xfffe
	s_lshl_b64 s[6:7], s[0:1], 1
	s_ashr_i32 s1, s22, 31
	s_mov_b32 s0, s22
	s_add_co_i32 s13, s28, s2
	s_wait_alu 0xfffe
	s_mul_u64 s[0:1], s[14:15], s[0:1]
	s_mov_b32 s28, s23
	s_ashr_i32 s35, s4, 31
	s_add_co_i32 s38, s38, 1
	s_add_co_i32 s39, s39, 1
	s_sub_co_i32 s43, 0, s11
	s_wait_alu 0xfffe
	s_lshl_b64 s[26:27], s[0:1], 1
	s_lshl_b64 s[28:29], s[28:29], 1
	s_mul_i32 s44, s22, s14
	s_branch .LBB10_4
.LBB10_2:                               ;   in Loop: Header=BB10_4 Depth=1
	s_or_b32 exec_lo, exec_lo, s46
.LBB10_3:                               ;   in Loop: Header=BB10_4 Depth=1
	s_wait_alu 0xfffe
	s_or_b32 exec_lo, exec_lo, s45
	v_lshlrev_b64_e32 v[3:4], 1, v[0:1]
	v_lshlrev_b64_e32 v[5:6], 3, v[0:1]
	v_add_co_u32 v0, vcc_lo, v0, s37
	s_wait_alu 0xfffd
	v_add_co_ci_u32_e64 v1, null, 0, v1, vcc_lo
	s_delay_alu instid0(VALU_DEP_4) | instskip(SKIP_2) | instid1(VALU_DEP_3)
	v_add_co_u32 v7, vcc_lo, s16, v3
	s_wait_alu 0xfffd
	v_add_co_ci_u32_e64 v8, null, s17, v4, vcc_lo
	v_cmp_le_i64_e32 vcc_lo, s[20:21], v[0:1]
	v_add_co_u32 v4, s0, s18, v5
	v_ashrrev_i32_e32 v3, 31, v2
	s_wait_alu 0xf1ff
	v_add_co_ci_u32_e64 v5, null, s19, v6, s0
	s_or_b32 s3, vcc_lo, s3
	global_store_b16 v[7:8], v10, off
	global_store_b64 v[4:5], v[2:3], off
	s_wait_alu 0xfffe
	s_and_not1_b32 exec_lo, exec_lo, s3
	s_cbranch_execz .LBB10_11
.LBB10_4:                               ; =>This Loop Header: Depth=1
                                        ;     Child Loop BB10_7 Depth 2
                                        ;       Child Loop BB10_9 Depth 3
	v_sub_nc_u32_e32 v2, 0, v0
	s_mov_b32 s45, exec_lo
	s_delay_alu instid0(VALU_DEP_1) | instskip(NEXT) | instid1(VALU_DEP_1)
	v_max_i32_e32 v2, v0, v2
	v_mul_hi_u32 v3, v2, s40
	s_delay_alu instid0(VALU_DEP_1) | instskip(NEXT) | instid1(VALU_DEP_1)
	v_mul_lo_u32 v4, v3, s34
	v_sub_nc_u32_e32 v2, v2, v4
	v_add_nc_u32_e32 v4, 1, v3
	s_delay_alu instid0(VALU_DEP_2) | instskip(SKIP_2) | instid1(VALU_DEP_2)
	v_subrev_nc_u32_e32 v5, s34, v2
	v_cmp_le_u32_e32 vcc_lo, s34, v2
	s_wait_alu 0xfffd
	v_dual_cndmask_b32 v3, v3, v4 :: v_dual_cndmask_b32 v2, v2, v5
	v_ashrrev_i32_e32 v4, 31, v0
	s_delay_alu instid0(VALU_DEP_2) | instskip(NEXT) | instid1(VALU_DEP_3)
	v_add_nc_u32_e32 v5, 1, v3
	v_cmp_le_u32_e32 vcc_lo, s34, v2
	s_delay_alu instid0(VALU_DEP_3) | instskip(SKIP_1) | instid1(VALU_DEP_3)
	v_xor_b32_e32 v4, s33, v4
	s_wait_alu 0xfffd
	v_cndmask_b32_e32 v2, v3, v5, vcc_lo
	s_delay_alu instid0(VALU_DEP_1) | instskip(NEXT) | instid1(VALU_DEP_1)
	v_xor_b32_e32 v2, v2, v4
	v_sub_nc_u32_e32 v2, v2, v4
	s_delay_alu instid0(VALU_DEP_1) | instskip(NEXT) | instid1(VALU_DEP_1)
	v_sub_nc_u32_e32 v3, 0, v2
	v_max_i32_e32 v3, v2, v3
	s_delay_alu instid0(VALU_DEP_1) | instskip(NEXT) | instid1(VALU_DEP_1)
	v_mul_hi_u32 v4, v3, s41
	v_mul_lo_u32 v5, v4, s36
	s_delay_alu instid0(VALU_DEP_1) | instskip(SKIP_1) | instid1(VALU_DEP_2)
	v_sub_nc_u32_e32 v3, v3, v5
	v_add_nc_u32_e32 v5, 1, v4
	v_subrev_nc_u32_e32 v6, s36, v3
	v_cmp_le_u32_e32 vcc_lo, s36, v3
	s_wait_alu 0xfffd
	s_delay_alu instid0(VALU_DEP_2) | instskip(SKIP_1) | instid1(VALU_DEP_2)
	v_dual_cndmask_b32 v4, v4, v5 :: v_dual_cndmask_b32 v3, v3, v6
	v_ashrrev_i32_e32 v5, 31, v2
	v_add_nc_u32_e32 v6, 1, v4
	s_delay_alu instid0(VALU_DEP_3) | instskip(NEXT) | instid1(VALU_DEP_3)
	v_cmp_le_u32_e32 vcc_lo, s36, v3
	v_xor_b32_e32 v5, s35, v5
	s_wait_alu 0xfffd
	s_delay_alu instid0(VALU_DEP_3) | instskip(SKIP_1) | instid1(VALU_DEP_2)
	v_cndmask_b32_e32 v3, v4, v6, vcc_lo
	v_mul_lo_u32 v4, v2, s5
	v_xor_b32_e32 v3, v3, v5
	s_delay_alu instid0(VALU_DEP_1) | instskip(NEXT) | instid1(VALU_DEP_1)
	v_sub_nc_u32_e32 v5, v3, v5
	v_mul_lo_u32 v3, v5, s4
	s_delay_alu instid0(VALU_DEP_1) | instskip(SKIP_1) | instid1(VALU_DEP_2)
	v_sub_nc_u32_e32 v2, v2, v3
	v_sub_nc_u32_e32 v3, v0, v4
	v_mul_lo_u32 v4, v2, s8
	s_delay_alu instid0(VALU_DEP_2) | instskip(NEXT) | instid1(VALU_DEP_2)
	v_mul_lo_u32 v7, v3, s9
	v_subrev_nc_u32_e32 v2, s10, v4
	s_delay_alu instid0(VALU_DEP_2) | instskip(NEXT) | instid1(VALU_DEP_2)
	v_subrev_nc_u32_e32 v6, s11, v7
	v_max_i32_e32 v3, 0, v2
	s_delay_alu instid0(VALU_DEP_2) | instskip(NEXT) | instid1(VALU_DEP_2)
	v_max_i32_e32 v8, 0, v6
	v_add_nc_u32_e32 v3, s10, v3
	s_delay_alu instid0(VALU_DEP_2) | instskip(NEXT) | instid1(VALU_DEP_2)
	v_add_nc_u32_e32 v8, s11, v8
	v_cmp_ne_u32_e32 vcc_lo, v3, v4
	s_delay_alu instid0(VALU_DEP_2) | instskip(SKIP_3) | instid1(VALU_DEP_2)
	v_cmp_ne_u32_e64 s0, v8, v7
	s_wait_alu 0xfffd
	v_cndmask_b32_e64 v9, 0, 1, vcc_lo
	s_wait_alu 0xf1ff
	v_cndmask_b32_e64 v10, 0, 1, s0
	s_delay_alu instid0(VALU_DEP_2) | instskip(NEXT) | instid1(VALU_DEP_2)
	v_add_nc_u32_e32 v4, v4, v9
	v_add_nc_u32_e32 v9, v7, v10
	s_delay_alu instid0(VALU_DEP_2) | instskip(NEXT) | instid1(VALU_DEP_2)
	v_sub_nc_u32_e32 v3, v3, v4
	v_sub_nc_u32_e32 v4, v8, v9
	s_delay_alu instid0(VALU_DEP_2) | instskip(NEXT) | instid1(VALU_DEP_2)
	v_mul_hi_u32 v8, v3, s42
	v_mul_hi_u32 v9, v4, s13
	s_delay_alu instid0(VALU_DEP_2) | instskip(NEXT) | instid1(VALU_DEP_2)
	v_mul_lo_u32 v10, v8, s30
	v_mul_lo_u32 v11, v9, s31
	s_delay_alu instid0(VALU_DEP_2) | instskip(SKIP_1) | instid1(VALU_DEP_3)
	v_sub_nc_u32_e32 v3, v3, v10
	v_add_nc_u32_e32 v10, 1, v8
	v_sub_nc_u32_e32 v4, v4, v11
	v_add_nc_u32_e32 v11, 1, v9
	s_delay_alu instid0(VALU_DEP_4) | instskip(SKIP_1) | instid1(VALU_DEP_4)
	v_subrev_nc_u32_e32 v12, s30, v3
	v_cmp_le_u32_e64 s1, s30, v3
	v_cmp_le_u32_e64 s2, s31, v4
	s_wait_alu 0xf1ff
	s_delay_alu instid0(VALU_DEP_2) | instskip(SKIP_3) | instid1(VALU_DEP_4)
	v_cndmask_b32_e64 v8, v8, v10, s1
	v_subrev_nc_u32_e32 v10, s31, v4
	v_cndmask_b32_e64 v3, v3, v12, s1
	v_cndmask_b32_e64 v9, v9, v11, s2
	v_add_nc_u32_e32 v11, 1, v8
	s_delay_alu instid0(VALU_DEP_4) | instskip(NEXT) | instid1(VALU_DEP_4)
	v_cndmask_b32_e64 v4, v4, v10, s2
	v_cmp_le_u32_e64 s1, s30, v3
	s_delay_alu instid0(VALU_DEP_4) | instskip(SKIP_1) | instid1(VALU_DEP_2)
	v_add_nc_u32_e32 v10, 1, v9
	s_wait_alu 0xf1ff
	v_cndmask_b32_e64 v3, v8, v11, s1
	v_cmp_le_u32_e64 s1, s31, v4
	s_delay_alu instid0(VALU_DEP_2) | instskip(SKIP_1) | instid1(VALU_DEP_2)
	v_add_co_ci_u32_e64 v3, null, 0, v3, vcc_lo
	s_wait_alu 0xf1ff
	v_cndmask_b32_e64 v4, v9, v10, s1
	v_mov_b32_e32 v10, 0xfffffc00
	s_delay_alu instid0(VALU_DEP_2) | instskip(SKIP_2) | instid1(VALU_DEP_3)
	v_add_co_ci_u32_e64 v8, null, 0, v4, s0
	v_mad_co_u64_u32 v[3:4], null, s22, v3, v[2:3]
	v_add_nc_u32_e32 v2, s38, v2
	v_mul_lo_u32 v4, s23, v8
	s_delay_alu instid0(VALU_DEP_2) | instskip(NEXT) | instid1(VALU_DEP_4)
	v_min_i32_e32 v9, s12, v2
	v_mul_lo_u32 v8, v3, s14
	s_delay_alu instid0(VALU_DEP_3) | instskip(NEXT) | instid1(VALU_DEP_1)
	v_add_nc_u32_e32 v11, v6, v4
	v_add_nc_u32_e32 v2, v11, v8
	s_delay_alu instid0(VALU_DEP_4)
	v_cmpx_lt_i32_e64 v3, v9
	s_cbranch_execz .LBB10_3
; %bb.5:                                ;   in Loop: Header=BB10_4 Depth=1
	v_add3_u32 v12, s43, v4, v7
	v_ashrrev_i32_e32 v4, 31, v3
	v_mul_lo_u32 v7, s15, v3
	v_add_nc_u32_e32 v6, s39, v6
	s_mov_b32 s46, 0
	v_ashrrev_i32_e32 v13, 31, v12
	v_mul_lo_u32 v4, s14, v4
	s_delay_alu instid0(VALU_DEP_2) | instskip(NEXT) | instid1(VALU_DEP_1)
	v_mad_co_u64_u32 v[12:13], null, s14, v3, v[12:13]
	v_add3_u32 v13, v7, v13, v4
	v_ashrrev_i32_e32 v4, 31, v5
	v_mul_lo_u32 v7, s7, v5
	s_delay_alu instid0(VALU_DEP_3) | instskip(NEXT) | instid1(VALU_DEP_3)
	v_lshlrev_b64_e32 v[12:13], 1, v[12:13]
	v_mul_lo_u32 v10, s6, v4
	s_delay_alu instid0(VALU_DEP_2) | instskip(SKIP_1) | instid1(VALU_DEP_1)
	v_mad_co_u64_u32 v[4:5], null, s6, v5, v[12:13]
	v_min_i32_e32 v12, s14, v6
	v_cmp_lt_i32_e32 vcc_lo, v11, v12
	s_delay_alu instid0(VALU_DEP_3) | instskip(NEXT) | instid1(VALU_DEP_4)
	v_add3_u32 v5, v7, v5, v10
	v_add_co_u32 v4, s0, s24, v4
	v_mov_b32_e32 v10, 0xfffffc00
	s_wait_alu 0xf1ff
	s_delay_alu instid0(VALU_DEP_3)
	v_add_co_ci_u32_e64 v5, null, s25, v5, s0
	s_branch .LBB10_7
.LBB10_6:                               ;   in Loop: Header=BB10_7 Depth=2
	s_or_b32 exec_lo, exec_lo, s47
	v_add_nc_u32_e32 v3, s22, v3
	s_wait_alu 0xfffe
	v_add_co_u32 v4, s1, v4, s26
	s_wait_alu 0xf1ff
	v_add_co_ci_u32_e64 v5, null, s27, v5, s1
	v_cmp_ge_i32_e64 s0, v3, v9
	v_add_nc_u32_e32 v8, s44, v8
	s_or_b32 s46, s0, s46
	s_delay_alu instid0(SALU_CYCLE_1)
	s_and_not1_b32 exec_lo, exec_lo, s46
	s_cbranch_execz .LBB10_2
.LBB10_7:                               ;   Parent Loop BB10_4 Depth=1
                                        ; =>  This Loop Header: Depth=2
                                        ;       Child Loop BB10_9 Depth 3
	s_and_saveexec_b32 s47, vcc_lo
	s_cbranch_execz .LBB10_6
; %bb.8:                                ;   in Loop: Header=BB10_7 Depth=2
	s_delay_alu instid0(VALU_DEP_1)
	v_dual_mov_b32 v7, v5 :: v_dual_mov_b32 v6, v4
	v_mov_b32_e32 v13, v11
	s_mov_b32 s48, 0
.LBB10_9:                               ;   Parent Loop BB10_4 Depth=1
                                        ;     Parent Loop BB10_7 Depth=2
                                        ; =>    This Inner Loop Header: Depth=3
	global_load_u16 v14, v[6:7], off
	v_add_nc_u32_e32 v15, v8, v13
	v_add_nc_u32_e32 v13, s23, v13
	v_add_co_u32 v6, s2, v6, s28
	s_wait_alu 0xf1ff
	v_add_co_ci_u32_e64 v7, null, s29, v7, s2
	s_delay_alu instid0(VALU_DEP_3)
	v_cmp_ge_i32_e64 s2, v13, v12
	s_wait_loadcnt 0x0
	v_cmp_gt_f16_e64 s0, v14, v10
	v_cmp_u_f16_e64 s1, v14, v14
	s_or_b32 s0, s0, s1
	s_or_b32 s48, s2, s48
	s_wait_alu 0xfffe
	v_cndmask_b32_e64 v10, v10, v14, s0
	v_cndmask_b32_e64 v2, v2, v15, s0
	s_and_not1_b32 exec_lo, exec_lo, s48
	s_cbranch_execnz .LBB10_9
; %bb.10:                               ;   in Loop: Header=BB10_7 Depth=2
	s_or_b32 exec_lo, exec_lo, s48
	s_branch .LBB10_6
.LBB10_11:
	s_endpgm
	.section	.rodata,"a",@progbits
	.p2align	6, 0x0
	.amdhsa_kernel _ZN2at6native12_GLOBAL__N_121max_pool_forward_nchwIN3c104HalfEiEEvT0_PKT_llliiiiiiiiiiPS6_Pl
		.amdhsa_group_segment_fixed_size 0
		.amdhsa_private_segment_fixed_size 0
		.amdhsa_kernarg_size 352
		.amdhsa_user_sgpr_count 2
		.amdhsa_user_sgpr_dispatch_ptr 0
		.amdhsa_user_sgpr_queue_ptr 0
		.amdhsa_user_sgpr_kernarg_segment_ptr 1
		.amdhsa_user_sgpr_dispatch_id 0
		.amdhsa_user_sgpr_private_segment_size 0
		.amdhsa_wavefront_size32 1
		.amdhsa_uses_dynamic_stack 0
		.amdhsa_enable_private_segment 0
		.amdhsa_system_sgpr_workgroup_id_x 1
		.amdhsa_system_sgpr_workgroup_id_y 0
		.amdhsa_system_sgpr_workgroup_id_z 0
		.amdhsa_system_sgpr_workgroup_info 0
		.amdhsa_system_vgpr_workitem_id 0
		.amdhsa_next_free_vgpr 16
		.amdhsa_next_free_sgpr 49
		.amdhsa_reserve_vcc 1
		.amdhsa_float_round_mode_32 0
		.amdhsa_float_round_mode_16_64 0
		.amdhsa_float_denorm_mode_32 3
		.amdhsa_float_denorm_mode_16_64 3
		.amdhsa_fp16_overflow 0
		.amdhsa_workgroup_processor_mode 1
		.amdhsa_memory_ordered 1
		.amdhsa_forward_progress 1
		.amdhsa_inst_pref_size 13
		.amdhsa_round_robin_scheduling 0
		.amdhsa_exception_fp_ieee_invalid_op 0
		.amdhsa_exception_fp_denorm_src 0
		.amdhsa_exception_fp_ieee_div_zero 0
		.amdhsa_exception_fp_ieee_overflow 0
		.amdhsa_exception_fp_ieee_underflow 0
		.amdhsa_exception_fp_ieee_inexact 0
		.amdhsa_exception_int_div_zero 0
	.end_amdhsa_kernel
	.section	.text._ZN2at6native12_GLOBAL__N_121max_pool_forward_nchwIN3c104HalfEiEEvT0_PKT_llliiiiiiiiiiPS6_Pl,"axG",@progbits,_ZN2at6native12_GLOBAL__N_121max_pool_forward_nchwIN3c104HalfEiEEvT0_PKT_llliiiiiiiiiiPS6_Pl,comdat
.Lfunc_end10:
	.size	_ZN2at6native12_GLOBAL__N_121max_pool_forward_nchwIN3c104HalfEiEEvT0_PKT_llliiiiiiiiiiPS6_Pl, .Lfunc_end10-_ZN2at6native12_GLOBAL__N_121max_pool_forward_nchwIN3c104HalfEiEEvT0_PKT_llliiiiiiiiiiPS6_Pl
                                        ; -- End function
	.set _ZN2at6native12_GLOBAL__N_121max_pool_forward_nchwIN3c104HalfEiEEvT0_PKT_llliiiiiiiiiiPS6_Pl.num_vgpr, 16
	.set _ZN2at6native12_GLOBAL__N_121max_pool_forward_nchwIN3c104HalfEiEEvT0_PKT_llliiiiiiiiiiPS6_Pl.num_agpr, 0
	.set _ZN2at6native12_GLOBAL__N_121max_pool_forward_nchwIN3c104HalfEiEEvT0_PKT_llliiiiiiiiiiPS6_Pl.numbered_sgpr, 49
	.set _ZN2at6native12_GLOBAL__N_121max_pool_forward_nchwIN3c104HalfEiEEvT0_PKT_llliiiiiiiiiiPS6_Pl.num_named_barrier, 0
	.set _ZN2at6native12_GLOBAL__N_121max_pool_forward_nchwIN3c104HalfEiEEvT0_PKT_llliiiiiiiiiiPS6_Pl.private_seg_size, 0
	.set _ZN2at6native12_GLOBAL__N_121max_pool_forward_nchwIN3c104HalfEiEEvT0_PKT_llliiiiiiiiiiPS6_Pl.uses_vcc, 1
	.set _ZN2at6native12_GLOBAL__N_121max_pool_forward_nchwIN3c104HalfEiEEvT0_PKT_llliiiiiiiiiiPS6_Pl.uses_flat_scratch, 0
	.set _ZN2at6native12_GLOBAL__N_121max_pool_forward_nchwIN3c104HalfEiEEvT0_PKT_llliiiiiiiiiiPS6_Pl.has_dyn_sized_stack, 0
	.set _ZN2at6native12_GLOBAL__N_121max_pool_forward_nchwIN3c104HalfEiEEvT0_PKT_llliiiiiiiiiiPS6_Pl.has_recursion, 0
	.set _ZN2at6native12_GLOBAL__N_121max_pool_forward_nchwIN3c104HalfEiEEvT0_PKT_llliiiiiiiiiiPS6_Pl.has_indirect_call, 0
	.section	.AMDGPU.csdata,"",@progbits
; Kernel info:
; codeLenInByte = 1584
; TotalNumSgprs: 51
; NumVgprs: 16
; ScratchSize: 0
; MemoryBound: 0
; FloatMode: 240
; IeeeMode: 1
; LDSByteSize: 0 bytes/workgroup (compile time only)
; SGPRBlocks: 0
; VGPRBlocks: 1
; NumSGPRsForWavesPerEU: 51
; NumVGPRsForWavesPerEU: 16
; Occupancy: 16
; WaveLimiterHint : 0
; COMPUTE_PGM_RSRC2:SCRATCH_EN: 0
; COMPUTE_PGM_RSRC2:USER_SGPR: 2
; COMPUTE_PGM_RSRC2:TRAP_HANDLER: 0
; COMPUTE_PGM_RSRC2:TGID_X_EN: 1
; COMPUTE_PGM_RSRC2:TGID_Y_EN: 0
; COMPUTE_PGM_RSRC2:TGID_Z_EN: 0
; COMPUTE_PGM_RSRC2:TIDIG_COMP_CNT: 0
	.section	.text._ZN2at6native12_GLOBAL__N_121max_pool_forward_nchwIN3c104HalfElEEvT0_PKT_llliiiiiiiiiiPS6_Pl,"axG",@progbits,_ZN2at6native12_GLOBAL__N_121max_pool_forward_nchwIN3c104HalfElEEvT0_PKT_llliiiiiiiiiiPS6_Pl,comdat
	.globl	_ZN2at6native12_GLOBAL__N_121max_pool_forward_nchwIN3c104HalfElEEvT0_PKT_llliiiiiiiiiiPS6_Pl ; -- Begin function _ZN2at6native12_GLOBAL__N_121max_pool_forward_nchwIN3c104HalfElEEvT0_PKT_llliiiiiiiiiiPS6_Pl
	.p2align	8
	.type	_ZN2at6native12_GLOBAL__N_121max_pool_forward_nchwIN3c104HalfElEEvT0_PKT_llliiiiiiiiiiPS6_Pl,@function
_ZN2at6native12_GLOBAL__N_121max_pool_forward_nchwIN3c104HalfElEEvT0_PKT_llliiiiiiiiiiPS6_Pl: ; @_ZN2at6native12_GLOBAL__N_121max_pool_forward_nchwIN3c104HalfElEEvT0_PKT_llliiiiiiiiiiPS6_Pl
; %bb.0:
	s_clause 0x1
	s_load_b32 s2, s[0:1], 0x6c
	s_load_b128 s[12:15], s[0:1], 0x0
	v_mov_b32_e32 v2, 0
	s_mov_b32 s3, exec_lo
	s_delay_alu instid0(VALU_DEP_1)
	v_mov_b32_e32 v1, v2
	s_wait_kmcnt 0x0
	s_and_b32 s2, s2, 0xffff
	s_delay_alu instid0(VALU_DEP_1) | instid1(SALU_CYCLE_1)
	v_mad_co_u64_u32 v[0:1], null, s2, ttmp9, v[0:1]
	s_delay_alu instid0(VALU_DEP_1)
	v_cmpx_gt_i64_e64 s[12:13], v[0:1]
	s_cbranch_execz .LBB11_27
; %bb.1:
	s_clause 0x1
	s_load_b256 s[4:11], s[0:1], 0x28
	s_load_b64 s[24:25], s[0:1], 0x48
	s_add_nc_u64 s[26:27], s[0:1], 0x60
	s_clause 0x1
	s_load_b128 s[16:19], s[0:1], 0x18
	s_load_b128 s[20:23], s[0:1], 0x50
	s_load_b32 s0, s[26:27], 0x0
	s_wait_kmcnt 0x0
	s_mov_b32 s26, s5
	v_cvt_f32_u32_e32 v4, s4
	v_cvt_f32_u32_e32 v3, s26
	s_add_co_i32 s1, s6, -1
	s_add_co_i32 s3, s7, -1
	s_ashr_i32 s7, s24, 31
	v_rcp_iflag_f32_e32 v4, v4
	v_rcp_iflag_f32_e32 v3, v3
	s_mov_b32 s6, s24
	s_ashr_i32 s33, s8, 31
	s_mov_b32 s42, s8
	s_ashr_i32 s45, s9, 31
	;; [unrolled: 2-line block ×3, first 2 shown]
	s_mov_b32 s8, s25
	s_wait_alu 0xfffe
	s_mul_i32 s49, s24, s1
	v_cmp_gt_u64_e64 s1, s[6:7], 1
	v_cmp_gt_u64_e64 s28, s[8:9], 1
	v_dual_mul_f32 v3, 0x4f7ffffe, v3 :: v_dual_mul_f32 v4, 0x4f7ffffe, v4
	s_mul_i32 s50, s25, s3
	s_ashr_i32 s27, s5, 31
	s_ashr_i32 s5, s4, 31
	s_ashr_i32 s43, s10, 31
	s_ashr_i32 s47, s11, 31
	s_add_co_i32 s49, s49, 1
	s_add_co_i32 s50, s50, 1
	s_mul_i32 s51, s0, s2
	s_and_b32 s0, s1, exec_lo
	s_mov_b32 s44, s10
	s_mov_b32 s48, s11
	s_cselect_b32 s11, s7, 0
	s_cselect_b32 s10, s24, 1
	s_and_b32 s0, s28, exec_lo
	v_cvt_u32_f32_e32 v15, v3
	v_cvt_u32_f32_e32 v16, v4
	s_mul_u64 s[0:1], s[18:19], s[16:17]
	s_mov_b32 s3, 0
	s_cselect_b32 s29, s9, 0
	s_cselect_b32 s28, s25, 1
	s_wait_alu 0xfffe
	s_lshl_b64 s[30:31], s[0:1], 1
	s_lshl_b64 s[34:35], s[8:9], 1
	s_ashr_i32 s36, s27, 31
	s_mov_b32 s17, 0
	s_branch .LBB11_4
.LBB11_2:                               ;   in Loop: Header=BB11_4 Depth=1
	s_or_b32 exec_lo, exec_lo, s38
.LBB11_3:                               ;   in Loop: Header=BB11_4 Depth=1
	s_wait_alu 0xfffe
	s_or_b32 exec_lo, exec_lo, s37
	v_lshlrev_b64_e32 v[3:4], 1, v[0:1]
	v_lshlrev_b64_e32 v[5:6], 3, v[0:1]
	v_add_co_u32 v0, vcc_lo, v0, s51
	s_wait_alu 0xfffd
	v_add_co_ci_u32_e64 v1, null, 0, v1, vcc_lo
	s_delay_alu instid0(VALU_DEP_4) | instskip(SKIP_2) | instid1(VALU_DEP_3)
	v_add_co_u32 v3, vcc_lo, s20, v3
	s_wait_alu 0xfffd
	v_add_co_ci_u32_e64 v4, null, s21, v4, vcc_lo
	v_cmp_le_i64_e32 vcc_lo, s[12:13], v[0:1]
	v_add_co_u32 v5, s0, s22, v5
	s_wait_alu 0xf1ff
	v_add_co_ci_u32_e64 v6, null, s23, v6, s0
	global_store_b16 v[3:4], v10, off
	global_store_b64 v[5:6], v[7:8], off
	s_or_b32 s17, vcc_lo, s17
	s_wait_alu 0xfffe
	s_and_not1_b32 exec_lo, exec_lo, s17
	s_cbranch_execz .LBB11_27
.LBB11_4:                               ; =>This Loop Header: Depth=1
                                        ;     Child Loop BB11_23 Depth 2
                                        ;       Child Loop BB11_25 Depth 3
	v_or_b32_e32 v3, s27, v1
                                        ; implicit-def: $vgpr6_vgpr7
	s_mov_b32 s0, exec_lo
	s_delay_alu instid0(VALU_DEP_1)
	v_cmpx_ne_u64_e32 0, v[2:3]
	s_wait_alu 0xfffe
	s_xor_b32 s1, exec_lo, s0
	s_cbranch_execz .LBB11_6
; %bb.5:                                ;   in Loop: Header=BB11_4 Depth=1
	s_mov_b32 s37, s36
	v_ashrrev_i32_e32 v9, 31, v1
	s_wait_alu 0xfffe
	s_add_nc_u64 s[38:39], s[26:27], s[36:37]
	s_wait_alu 0xfffe
	s_xor_b64 s[38:39], s[38:39], s[36:37]
	v_add_co_u32 v3, vcc_lo, v0, v9
	s_wait_alu 0xfffe
	s_cvt_f32_u32 s0, s38
	s_cvt_f32_u32 s2, s39
	s_sub_nc_u64 s[52:53], 0, s[38:39]
	s_wait_alu 0xfffd
	v_add_co_ci_u32_e64 v4, null, v1, v9, vcc_lo
	s_wait_alu 0xfffe
	s_fmamk_f32 s0, s2, 0x4f800000, s0
	v_xor_b32_e32 v10, v3, v9
	s_delay_alu instid0(VALU_DEP_2) | instskip(SKIP_2) | instid1(TRANS32_DEP_1)
	v_xor_b32_e32 v11, v4, v9
	s_wait_alu 0xfffe
	v_s_rcp_f32 s0, s0
	s_mul_f32 s0, s0, 0x5f7ffffc
	s_wait_alu 0xfffe
	s_delay_alu instid0(SALU_CYCLE_2) | instskip(SKIP_1) | instid1(SALU_CYCLE_2)
	s_mul_f32 s2, s0, 0x2f800000
	s_wait_alu 0xfffe
	s_trunc_f32 s2, s2
	s_wait_alu 0xfffe
	s_delay_alu instid0(SALU_CYCLE_2) | instskip(SKIP_2) | instid1(SALU_CYCLE_1)
	s_fmamk_f32 s0, s2, 0xcf800000, s0
	s_cvt_u32_f32 s41, s2
	s_wait_alu 0xfffe
	s_cvt_u32_f32 s40, s0
	s_wait_alu 0xfffe
	s_delay_alu instid0(SALU_CYCLE_2) | instskip(NEXT) | instid1(SALU_CYCLE_1)
	s_mul_u64 s[54:55], s[52:53], s[40:41]
	s_mul_hi_u32 s57, s40, s55
	s_mul_i32 s56, s40, s55
	s_mul_hi_u32 s2, s40, s54
	s_mul_i32 s37, s41, s54
	s_wait_alu 0xfffe
	s_add_nc_u64 s[56:57], s[2:3], s[56:57]
	s_mul_hi_u32 s0, s41, s54
	s_mul_hi_u32 s58, s41, s55
	s_add_co_u32 s2, s56, s37
	s_wait_alu 0xfffe
	s_add_co_ci_u32 s2, s57, s0
	s_mul_i32 s54, s41, s55
	s_add_co_ci_u32 s55, s58, 0
	s_wait_alu 0xfffe
	s_add_nc_u64 s[54:55], s[2:3], s[54:55]
	s_delay_alu instid0(SALU_CYCLE_1)
	s_add_co_u32 s40, s40, s54
	s_cselect_b32 s0, -1, 0
	s_wait_alu 0xfffe
	s_cmp_lg_u32 s0, 0
	s_add_co_ci_u32 s41, s41, s55
	s_wait_alu 0xfffe
	s_mul_u64 s[52:53], s[52:53], s[40:41]
	s_delay_alu instid0(SALU_CYCLE_1)
	s_mul_hi_u32 s55, s40, s53
	s_mul_i32 s54, s40, s53
	s_mul_hi_u32 s2, s40, s52
	s_mul_i32 s37, s41, s52
	s_wait_alu 0xfffe
	s_add_nc_u64 s[54:55], s[2:3], s[54:55]
	s_mul_hi_u32 s0, s41, s52
	s_mul_hi_u32 s56, s41, s53
	s_add_co_u32 s2, s54, s37
	s_wait_alu 0xfffe
	s_add_co_ci_u32 s2, s55, s0
	s_mul_i32 s52, s41, s53
	s_add_co_ci_u32 s53, s56, 0
	s_wait_alu 0xfffe
	s_add_nc_u64 s[52:53], s[2:3], s[52:53]
	s_delay_alu instid0(SALU_CYCLE_1)
	s_add_co_u32 s0, s40, s52
	s_cselect_b32 s2, -1, 0
	s_wait_alu 0xfffe
	v_mul_hi_u32 v12, v10, s0
	s_cmp_lg_u32 s2, 0
	v_mad_co_u64_u32 v[5:6], null, v11, s0, 0
	s_add_co_ci_u32 s2, s41, s53
	s_wait_alu 0xfffe
	v_mad_co_u64_u32 v[3:4], null, v10, s2, 0
	v_mad_co_u64_u32 v[7:8], null, v11, s2, 0
	s_delay_alu instid0(VALU_DEP_2) | instskip(SKIP_1) | instid1(VALU_DEP_3)
	v_add_co_u32 v3, vcc_lo, v12, v3
	s_wait_alu 0xfffd
	v_add_co_ci_u32_e64 v4, null, 0, v4, vcc_lo
	s_delay_alu instid0(VALU_DEP_2) | instskip(SKIP_1) | instid1(VALU_DEP_2)
	v_add_co_u32 v3, vcc_lo, v3, v5
	s_wait_alu 0xfffd
	v_add_co_ci_u32_e32 v3, vcc_lo, v4, v6, vcc_lo
	s_wait_alu 0xfffd
	v_add_co_ci_u32_e32 v4, vcc_lo, 0, v8, vcc_lo
	s_delay_alu instid0(VALU_DEP_2) | instskip(SKIP_1) | instid1(VALU_DEP_2)
	v_add_co_u32 v5, vcc_lo, v3, v7
	s_wait_alu 0xfffd
	v_add_co_ci_u32_e64 v6, null, 0, v4, vcc_lo
	s_delay_alu instid0(VALU_DEP_2) | instskip(SKIP_1) | instid1(VALU_DEP_3)
	v_mul_lo_u32 v7, s39, v5
	v_mad_co_u64_u32 v[3:4], null, s38, v5, 0
	v_mul_lo_u32 v8, s38, v6
	s_delay_alu instid0(VALU_DEP_2) | instskip(NEXT) | instid1(VALU_DEP_2)
	v_sub_co_u32 v3, vcc_lo, v10, v3
	v_add3_u32 v4, v4, v8, v7
	v_add_co_u32 v8, s0, v5, 2
	s_wait_alu 0xf1ff
	v_add_co_ci_u32_e64 v10, null, 0, v6, s0
	s_delay_alu instid0(VALU_DEP_3) | instskip(SKIP_3) | instid1(VALU_DEP_3)
	v_sub_nc_u32_e32 v7, v11, v4
	v_sub_co_u32 v12, s0, v3, s38
	s_wait_alu 0xfffd
	v_sub_co_ci_u32_e64 v4, null, v11, v4, vcc_lo
	v_subrev_co_ci_u32_e64 v7, null, s39, v7, vcc_lo
	s_delay_alu instid0(VALU_DEP_3) | instskip(SKIP_1) | instid1(VALU_DEP_2)
	v_cmp_le_u32_e32 vcc_lo, s38, v12
	s_wait_alu 0xf1ff
	v_subrev_co_ci_u32_e64 v7, null, 0, v7, s0
	s_wait_alu 0xfffd
	v_cndmask_b32_e64 v11, 0, -1, vcc_lo
	s_delay_alu instid0(VALU_DEP_2)
	v_cmp_le_u32_e32 vcc_lo, s39, v7
	s_wait_alu 0xfffd
	v_cndmask_b32_e64 v12, 0, -1, vcc_lo
	v_cmp_le_u32_e32 vcc_lo, s38, v3
	s_wait_alu 0xfffd
	v_cndmask_b32_e64 v3, 0, -1, vcc_lo
	;; [unrolled: 3-line block ×3, first 2 shown]
	v_cmp_eq_u32_e32 vcc_lo, s39, v7
	s_wait_alu 0xfffd
	v_cndmask_b32_e32 v7, v12, v11, vcc_lo
	v_add_co_u32 v11, vcc_lo, v5, 1
	s_wait_alu 0xfffd
	v_add_co_ci_u32_e64 v12, null, 0, v6, vcc_lo
	v_cmp_eq_u32_e32 vcc_lo, s39, v4
	s_wait_alu 0xfffd
	v_cndmask_b32_e32 v3, v13, v3, vcc_lo
	v_cmp_ne_u32_e32 vcc_lo, 0, v7
	v_xor_b32_e32 v7, s36, v9
	s_wait_alu 0xfffd
	v_cndmask_b32_e32 v4, v12, v10, vcc_lo
	v_cmp_ne_u32_e64 s0, 0, v3
	v_cndmask_b32_e32 v3, v11, v8, vcc_lo
	s_wait_alu 0xf1ff
	s_delay_alu instid0(VALU_DEP_2) | instskip(NEXT) | instid1(VALU_DEP_2)
	v_cndmask_b32_e64 v4, v6, v4, s0
	v_cndmask_b32_e64 v3, v5, v3, s0
	s_delay_alu instid0(VALU_DEP_2) | instskip(NEXT) | instid1(VALU_DEP_2)
	v_xor_b32_e32 v4, v4, v7
	v_xor_b32_e32 v3, v3, v7
	s_delay_alu instid0(VALU_DEP_1) | instskip(SKIP_1) | instid1(VALU_DEP_3)
	v_sub_co_u32 v6, vcc_lo, v3, v7
	s_wait_alu 0xfffd
	v_sub_co_ci_u32_e64 v7, null, v4, v7, vcc_lo
.LBB11_6:                               ;   in Loop: Header=BB11_4 Depth=1
	s_wait_alu 0xfffe
	s_and_not1_saveexec_b32 s0, s1
	s_cbranch_execz .LBB11_8
; %bb.7:                                ;   in Loop: Header=BB11_4 Depth=1
	s_sub_co_i32 s1, 0, s26
	v_mov_b32_e32 v7, v2
	s_wait_alu 0xfffe
	v_mul_lo_u32 v3, s1, v15
	s_delay_alu instid0(VALU_DEP_1) | instskip(NEXT) | instid1(VALU_DEP_1)
	v_mul_hi_u32 v3, v15, v3
	v_add_nc_u32_e32 v3, v15, v3
	s_delay_alu instid0(VALU_DEP_1) | instskip(NEXT) | instid1(VALU_DEP_1)
	v_mul_hi_u32 v3, v0, v3
	v_mul_lo_u32 v4, v3, s26
	v_add_nc_u32_e32 v5, 1, v3
	s_delay_alu instid0(VALU_DEP_2) | instskip(NEXT) | instid1(VALU_DEP_1)
	v_sub_nc_u32_e32 v4, v0, v4
	v_subrev_nc_u32_e32 v6, s26, v4
	v_cmp_le_u32_e32 vcc_lo, s26, v4
	s_wait_alu 0xfffd
	s_delay_alu instid0(VALU_DEP_2) | instskip(NEXT) | instid1(VALU_DEP_1)
	v_dual_cndmask_b32 v4, v4, v6 :: v_dual_cndmask_b32 v3, v3, v5
	v_cmp_le_u32_e32 vcc_lo, s26, v4
	s_delay_alu instid0(VALU_DEP_2) | instskip(SKIP_1) | instid1(VALU_DEP_1)
	v_add_nc_u32_e32 v5, 1, v3
	s_wait_alu 0xfffd
	v_cndmask_b32_e32 v6, v3, v5, vcc_lo
.LBB11_8:                               ;   in Loop: Header=BB11_4 Depth=1
	s_wait_alu 0xfffe
	s_or_b32 exec_lo, exec_lo, s0
	v_or_b32_e32 v3, s5, v7
                                        ; implicit-def: $vgpr4_vgpr5
	s_mov_b32 s0, exec_lo
	s_delay_alu instid0(VALU_DEP_1)
	v_cmpx_ne_u64_e32 0, v[2:3]
	s_wait_alu 0xfffe
	s_xor_b32 s1, exec_lo, s0
	s_cbranch_execz .LBB11_10
; %bb.9:                                ;   in Loop: Header=BB11_4 Depth=1
	s_ashr_i32 s38, s5, 31
	v_ashrrev_i32_e32 v5, 31, v7
	s_wait_alu 0xfffe
	s_mov_b32 s39, s38
	s_wait_alu 0xfffe
	s_add_nc_u64 s[40:41], s[4:5], s[38:39]
	v_add_co_u32 v3, vcc_lo, v6, v5
	s_wait_alu 0xfffe
	s_xor_b64 s[40:41], s[40:41], s[38:39]
	s_wait_alu 0xfffd
	v_add_co_ci_u32_e64 v4, null, v7, v5, vcc_lo
	s_wait_alu 0xfffe
	s_cvt_f32_u32 s0, s40
	s_cvt_f32_u32 s2, s41
	s_sub_nc_u64 s[54:55], 0, s[40:41]
	v_xor_b32_e32 v12, v3, v5
	v_xor_b32_e32 v13, v4, v5
	s_wait_alu 0xfffe
	s_fmamk_f32 s0, s2, 0x4f800000, s0
	v_xor_b32_e32 v5, s38, v5
	s_wait_alu 0xfffe
	s_delay_alu instid0(SALU_CYCLE_1) | instskip(NEXT) | instid1(TRANS32_DEP_1)
	v_s_rcp_f32 s0, s0
	s_mul_f32 s0, s0, 0x5f7ffffc
	s_wait_alu 0xfffe
	s_delay_alu instid0(SALU_CYCLE_2) | instskip(SKIP_1) | instid1(SALU_CYCLE_2)
	s_mul_f32 s2, s0, 0x2f800000
	s_wait_alu 0xfffe
	s_trunc_f32 s2, s2
	s_wait_alu 0xfffe
	s_delay_alu instid0(SALU_CYCLE_2) | instskip(SKIP_2) | instid1(SALU_CYCLE_1)
	s_fmamk_f32 s0, s2, 0xcf800000, s0
	s_cvt_u32_f32 s53, s2
	s_wait_alu 0xfffe
	s_cvt_u32_f32 s52, s0
	s_delay_alu instid0(SALU_CYCLE_3) | instskip(NEXT) | instid1(SALU_CYCLE_1)
	s_mul_u64 s[56:57], s[54:55], s[52:53]
	s_mul_hi_u32 s59, s52, s57
	s_mul_i32 s58, s52, s57
	s_mul_hi_u32 s2, s52, s56
	s_mul_i32 s37, s53, s56
	s_wait_alu 0xfffe
	s_add_nc_u64 s[58:59], s[2:3], s[58:59]
	s_mul_hi_u32 s0, s53, s56
	s_mul_hi_u32 s39, s53, s57
	s_add_co_u32 s2, s58, s37
	s_wait_alu 0xfffe
	s_add_co_ci_u32 s2, s59, s0
	s_mul_i32 s56, s53, s57
	s_add_co_ci_u32 s57, s39, 0
	s_wait_alu 0xfffe
	s_add_nc_u64 s[56:57], s[2:3], s[56:57]
	s_delay_alu instid0(SALU_CYCLE_1) | instskip(SKIP_4) | instid1(SALU_CYCLE_1)
	s_add_co_u32 s52, s52, s56
	s_cselect_b32 s0, -1, 0
	s_wait_alu 0xfffe
	s_cmp_lg_u32 s0, 0
	s_add_co_ci_u32 s53, s53, s57
	s_mul_u64 s[54:55], s[54:55], s[52:53]
	s_delay_alu instid0(SALU_CYCLE_1)
	s_mul_hi_u32 s57, s52, s55
	s_mul_i32 s56, s52, s55
	s_mul_hi_u32 s2, s52, s54
	s_mul_i32 s37, s53, s54
	s_wait_alu 0xfffe
	s_add_nc_u64 s[56:57], s[2:3], s[56:57]
	s_mul_hi_u32 s0, s53, s54
	s_mul_hi_u32 s39, s53, s55
	s_add_co_u32 s2, s56, s37
	s_wait_alu 0xfffe
	s_add_co_ci_u32 s2, s57, s0
	s_mul_i32 s54, s53, s55
	s_add_co_ci_u32 s55, s39, 0
	s_wait_alu 0xfffe
	s_add_nc_u64 s[54:55], s[2:3], s[54:55]
	s_delay_alu instid0(SALU_CYCLE_1)
	s_add_co_u32 s0, s52, s54
	s_cselect_b32 s2, -1, 0
	s_wait_alu 0xfffe
	v_mul_hi_u32 v14, v12, s0
	s_cmp_lg_u32 s2, 0
	v_mad_co_u64_u32 v[8:9], null, v13, s0, 0
	s_add_co_ci_u32 s2, s53, s55
	s_wait_alu 0xfffe
	v_mad_co_u64_u32 v[3:4], null, v12, s2, 0
	v_mad_co_u64_u32 v[10:11], null, v13, s2, 0
	s_delay_alu instid0(VALU_DEP_2) | instskip(SKIP_1) | instid1(VALU_DEP_3)
	v_add_co_u32 v3, vcc_lo, v14, v3
	s_wait_alu 0xfffd
	v_add_co_ci_u32_e64 v4, null, 0, v4, vcc_lo
	s_delay_alu instid0(VALU_DEP_2) | instskip(SKIP_1) | instid1(VALU_DEP_2)
	v_add_co_u32 v3, vcc_lo, v3, v8
	s_wait_alu 0xfffd
	v_add_co_ci_u32_e32 v3, vcc_lo, v4, v9, vcc_lo
	s_wait_alu 0xfffd
	v_add_co_ci_u32_e32 v4, vcc_lo, 0, v11, vcc_lo
	s_delay_alu instid0(VALU_DEP_2) | instskip(SKIP_1) | instid1(VALU_DEP_2)
	v_add_co_u32 v8, vcc_lo, v3, v10
	s_wait_alu 0xfffd
	v_add_co_ci_u32_e64 v9, null, 0, v4, vcc_lo
	s_delay_alu instid0(VALU_DEP_2) | instskip(SKIP_1) | instid1(VALU_DEP_3)
	v_mul_lo_u32 v10, s41, v8
	v_mad_co_u64_u32 v[3:4], null, s40, v8, 0
	v_mul_lo_u32 v11, s40, v9
	s_delay_alu instid0(VALU_DEP_2) | instskip(NEXT) | instid1(VALU_DEP_2)
	v_sub_co_u32 v3, vcc_lo, v12, v3
	v_add3_u32 v4, v4, v11, v10
	v_add_co_u32 v11, s0, v8, 2
	s_wait_alu 0xf1ff
	v_add_co_ci_u32_e64 v12, null, 0, v9, s0
	s_delay_alu instid0(VALU_DEP_3) | instskip(SKIP_3) | instid1(VALU_DEP_3)
	v_sub_nc_u32_e32 v10, v13, v4
	v_sub_co_u32 v14, s0, v3, s40
	s_wait_alu 0xfffd
	v_sub_co_ci_u32_e64 v4, null, v13, v4, vcc_lo
	v_subrev_co_ci_u32_e64 v10, null, s41, v10, vcc_lo
	s_delay_alu instid0(VALU_DEP_3) | instskip(SKIP_1) | instid1(VALU_DEP_2)
	v_cmp_le_u32_e32 vcc_lo, s40, v14
	s_wait_alu 0xf1ff
	v_subrev_co_ci_u32_e64 v10, null, 0, v10, s0
	s_wait_alu 0xfffd
	v_cndmask_b32_e64 v13, 0, -1, vcc_lo
	s_delay_alu instid0(VALU_DEP_2)
	v_cmp_le_u32_e32 vcc_lo, s41, v10
	s_wait_alu 0xfffd
	v_cndmask_b32_e64 v14, 0, -1, vcc_lo
	v_cmp_le_u32_e32 vcc_lo, s40, v3
	s_wait_alu 0xfffd
	v_cndmask_b32_e64 v3, 0, -1, vcc_lo
	v_cmp_le_u32_e32 vcc_lo, s41, v4
	s_wait_alu 0xfffd
	v_cndmask_b32_e64 v17, 0, -1, vcc_lo
	v_cmp_eq_u32_e32 vcc_lo, s41, v10
	s_wait_alu 0xfffd
	v_cndmask_b32_e32 v10, v14, v13, vcc_lo
	v_add_co_u32 v13, vcc_lo, v8, 1
	s_wait_alu 0xfffd
	v_add_co_ci_u32_e64 v14, null, 0, v9, vcc_lo
	v_cmp_eq_u32_e32 vcc_lo, s41, v4
	s_wait_alu 0xfffd
	v_cndmask_b32_e32 v3, v17, v3, vcc_lo
	v_cmp_ne_u32_e32 vcc_lo, 0, v10
	s_delay_alu instid0(VALU_DEP_2) | instskip(SKIP_3) | instid1(VALU_DEP_1)
	v_cmp_ne_u32_e64 s0, 0, v3
	s_wait_alu 0xfffd
	v_dual_cndmask_b32 v4, v14, v12 :: v_dual_cndmask_b32 v3, v13, v11
	s_wait_alu 0xf1ff
	v_cndmask_b32_e64 v4, v9, v4, s0
	s_delay_alu instid0(VALU_DEP_2) | instskip(NEXT) | instid1(VALU_DEP_2)
	v_cndmask_b32_e64 v3, v8, v3, s0
	v_xor_b32_e32 v8, v4, v5
	s_delay_alu instid0(VALU_DEP_2) | instskip(NEXT) | instid1(VALU_DEP_1)
	v_xor_b32_e32 v3, v3, v5
	v_sub_co_u32 v4, vcc_lo, v3, v5
	s_wait_alu 0xfffd
	s_delay_alu instid0(VALU_DEP_3)
	v_sub_co_ci_u32_e64 v5, null, v8, v5, vcc_lo
.LBB11_10:                              ;   in Loop: Header=BB11_4 Depth=1
	s_wait_alu 0xfffe
	s_and_not1_saveexec_b32 s0, s1
	s_cbranch_execz .LBB11_12
; %bb.11:                               ;   in Loop: Header=BB11_4 Depth=1
	s_sub_co_i32 s1, 0, s4
	s_wait_alu 0xfffe
	v_mul_lo_u32 v3, s1, v16
	s_delay_alu instid0(VALU_DEP_1) | instskip(NEXT) | instid1(VALU_DEP_1)
	v_mul_hi_u32 v3, v16, v3
	v_add_nc_u32_e32 v3, v16, v3
	s_delay_alu instid0(VALU_DEP_1) | instskip(NEXT) | instid1(VALU_DEP_1)
	v_mul_hi_u32 v3, v6, v3
	v_mul_lo_u32 v4, v3, s4
	s_delay_alu instid0(VALU_DEP_1) | instskip(NEXT) | instid1(VALU_DEP_1)
	v_sub_nc_u32_e32 v4, v6, v4
	v_subrev_nc_u32_e32 v8, s4, v4
	v_cmp_le_u32_e32 vcc_lo, s4, v4
	s_wait_alu 0xfffd
	s_delay_alu instid0(VALU_DEP_2) | instskip(NEXT) | instid1(VALU_DEP_1)
	v_dual_cndmask_b32 v4, v4, v8 :: v_dual_add_nc_u32 v5, 1, v3
	v_cndmask_b32_e32 v3, v3, v5, vcc_lo
	s_delay_alu instid0(VALU_DEP_2) | instskip(NEXT) | instid1(VALU_DEP_2)
	v_cmp_le_u32_e32 vcc_lo, s4, v4
	v_add_nc_u32_e32 v5, 1, v3
	s_wait_alu 0xfffd
	s_delay_alu instid0(VALU_DEP_1)
	v_dual_cndmask_b32 v4, v3, v5 :: v_dual_mov_b32 v5, v2
.LBB11_12:                              ;   in Loop: Header=BB11_4 Depth=1
	s_wait_alu 0xfffe
	s_or_b32 exec_lo, exec_lo, s0
	s_delay_alu instid0(VALU_DEP_1) | instskip(NEXT) | instid1(VALU_DEP_2)
	v_mul_lo_u32 v3, v5, s4
	v_mul_lo_u32 v10, v4, s5
	v_mad_co_u64_u32 v[8:9], null, v4, s4, 0
	s_mov_b32 s0, exec_lo
	v_add3_u32 v3, v9, v10, v3
	v_sub_co_u32 v8, vcc_lo, v6, v8
	s_wait_alu 0xfffd
	s_delay_alu instid0(VALU_DEP_2) | instskip(NEXT) | instid1(VALU_DEP_2)
	v_sub_co_ci_u32_e64 v3, null, v7, v3, vcc_lo
	v_mul_lo_u32 v9, v8, s33
	v_mad_co_u64_u32 v[10:11], null, v8, s42, 0
	s_delay_alu instid0(VALU_DEP_3) | instskip(NEXT) | instid1(VALU_DEP_2)
	v_mul_lo_u32 v3, v3, s42
	v_sub_co_u32 v8, vcc_lo, v10, s44
	s_delay_alu instid0(VALU_DEP_2) | instskip(SKIP_1) | instid1(VALU_DEP_1)
	v_add3_u32 v11, v11, v9, v3
	s_wait_alu 0xfffd
	v_subrev_co_ci_u32_e64 v9, null, s43, v11, vcc_lo
	s_delay_alu instid0(VALU_DEP_1) | instskip(SKIP_2) | instid1(VALU_DEP_1)
	v_cmp_lt_i64_e32 vcc_lo, 0, v[8:9]
	s_wait_alu 0xfffd
	v_dual_cndmask_b32 v3, 0, v9 :: v_dual_cndmask_b32 v12, 0, v8
	v_add_co_u32 v12, vcc_lo, v12, s44
	s_wait_alu 0xfffd
	s_delay_alu instid0(VALU_DEP_2) | instskip(NEXT) | instid1(VALU_DEP_1)
	v_add_co_ci_u32_e64 v13, null, s43, v3, vcc_lo
	v_cmp_ne_u64_e32 vcc_lo, v[12:13], v[10:11]
	s_wait_alu 0xfffd
	v_cndmask_b32_e64 v14, 0, 1, vcc_lo
	s_delay_alu instid0(VALU_DEP_1) | instskip(SKIP_2) | instid1(VALU_DEP_2)
	v_add_co_u32 v3, vcc_lo, v10, v14
	s_wait_alu 0xfffd
	v_add_co_ci_u32_e64 v10, null, 0, v11, vcc_lo
	v_sub_co_u32 v12, vcc_lo, v12, v3
	s_wait_alu 0xfffd
	s_delay_alu instid0(VALU_DEP_2) | instskip(NEXT) | instid1(VALU_DEP_1)
	v_sub_co_ci_u32_e64 v13, null, v13, v10, vcc_lo
                                        ; implicit-def: $vgpr10_vgpr11
	v_or_b32_e32 v3, s11, v13
	s_delay_alu instid0(VALU_DEP_1)
	v_cmpx_ne_u64_e32 0, v[2:3]
	s_wait_alu 0xfffe
	s_xor_b32 s1, exec_lo, s0
	s_cbranch_execz .LBB11_14
; %bb.13:                               ;   in Loop: Header=BB11_4 Depth=1
	s_cvt_f32_u32 s0, s10
	s_cvt_f32_u32 s2, s11
	s_sub_nc_u64 s[40:41], 0, s[10:11]
	s_wait_alu 0xfffe
	s_delay_alu instid0(SALU_CYCLE_1) | instskip(SKIP_1) | instid1(SALU_CYCLE_2)
	s_fmamk_f32 s0, s2, 0x4f800000, s0
	s_wait_alu 0xfffe
	v_s_rcp_f32 s0, s0
	s_delay_alu instid0(TRANS32_DEP_1) | instskip(SKIP_1) | instid1(SALU_CYCLE_2)
	s_mul_f32 s0, s0, 0x5f7ffffc
	s_wait_alu 0xfffe
	s_mul_f32 s2, s0, 0x2f800000
	s_wait_alu 0xfffe
	s_delay_alu instid0(SALU_CYCLE_2) | instskip(SKIP_1) | instid1(SALU_CYCLE_2)
	s_trunc_f32 s2, s2
	s_wait_alu 0xfffe
	s_fmamk_f32 s0, s2, 0xcf800000, s0
	s_cvt_u32_f32 s39, s2
	s_wait_alu 0xfffe
	s_delay_alu instid0(SALU_CYCLE_1) | instskip(SKIP_1) | instid1(SALU_CYCLE_2)
	s_cvt_u32_f32 s38, s0
	s_wait_alu 0xfffe
	s_mul_u64 s[52:53], s[40:41], s[38:39]
	s_delay_alu instid0(SALU_CYCLE_1)
	s_mul_hi_u32 s55, s38, s53
	s_mul_i32 s54, s38, s53
	s_mul_hi_u32 s2, s38, s52
	s_mul_i32 s37, s39, s52
	s_wait_alu 0xfffe
	s_add_nc_u64 s[54:55], s[2:3], s[54:55]
	s_mul_hi_u32 s0, s39, s52
	s_mul_hi_u32 s56, s39, s53
	s_add_co_u32 s2, s54, s37
	s_wait_alu 0xfffe
	s_add_co_ci_u32 s2, s55, s0
	s_mul_i32 s52, s39, s53
	s_add_co_ci_u32 s53, s56, 0
	s_wait_alu 0xfffe
	s_add_nc_u64 s[52:53], s[2:3], s[52:53]
	s_delay_alu instid0(SALU_CYCLE_1)
	s_add_co_u32 s38, s38, s52
	s_cselect_b32 s0, -1, 0
	s_wait_alu 0xfffe
	s_cmp_lg_u32 s0, 0
	s_add_co_ci_u32 s39, s39, s53
	s_wait_alu 0xfffe
	s_mul_u64 s[40:41], s[40:41], s[38:39]
	s_wait_alu 0xfffe
	s_mul_hi_u32 s53, s38, s41
	s_mul_i32 s52, s38, s41
	s_mul_hi_u32 s2, s38, s40
	s_mul_i32 s37, s39, s40
	s_wait_alu 0xfffe
	s_add_nc_u64 s[52:53], s[2:3], s[52:53]
	s_mul_hi_u32 s0, s39, s40
	s_mul_hi_u32 s54, s39, s41
	s_add_co_u32 s2, s52, s37
	s_wait_alu 0xfffe
	s_add_co_ci_u32 s2, s53, s0
	s_mul_i32 s40, s39, s41
	s_add_co_ci_u32 s41, s54, 0
	s_wait_alu 0xfffe
	s_add_nc_u64 s[40:41], s[2:3], s[40:41]
	s_wait_alu 0xfffe
	s_add_co_u32 s0, s38, s40
	s_cselect_b32 s2, -1, 0
	s_wait_alu 0xfffe
	v_mul_hi_u32 v3, v12, s0
	s_cmp_lg_u32 s2, 0
	v_mad_co_u64_u32 v[17:18], null, v13, s0, 0
	s_add_co_ci_u32 s2, s39, s41
	s_wait_alu 0xfffe
	v_mad_co_u64_u32 v[10:11], null, v12, s2, 0
	v_mad_co_u64_u32 v[19:20], null, v13, s2, 0
	s_delay_alu instid0(VALU_DEP_2) | instskip(SKIP_1) | instid1(VALU_DEP_3)
	v_add_co_u32 v3, vcc_lo, v3, v10
	s_wait_alu 0xfffd
	v_add_co_ci_u32_e64 v10, null, 0, v11, vcc_lo
	s_delay_alu instid0(VALU_DEP_2) | instskip(SKIP_1) | instid1(VALU_DEP_2)
	v_add_co_u32 v3, vcc_lo, v3, v17
	s_wait_alu 0xfffd
	v_add_co_ci_u32_e32 v3, vcc_lo, v10, v18, vcc_lo
	s_wait_alu 0xfffd
	v_add_co_ci_u32_e32 v10, vcc_lo, 0, v20, vcc_lo
	s_delay_alu instid0(VALU_DEP_2) | instskip(SKIP_1) | instid1(VALU_DEP_2)
	v_add_co_u32 v3, vcc_lo, v3, v19
	s_wait_alu 0xfffd
	v_add_co_ci_u32_e64 v17, null, 0, v10, vcc_lo
	s_delay_alu instid0(VALU_DEP_2) | instskip(SKIP_1) | instid1(VALU_DEP_3)
	v_mul_lo_u32 v18, s11, v3
	v_mad_co_u64_u32 v[10:11], null, s10, v3, 0
	v_mul_lo_u32 v19, s10, v17
	s_delay_alu instid0(VALU_DEP_2) | instskip(NEXT) | instid1(VALU_DEP_2)
	v_sub_co_u32 v10, vcc_lo, v12, v10
	v_add3_u32 v11, v11, v19, v18
	s_delay_alu instid0(VALU_DEP_1) | instskip(SKIP_2) | instid1(VALU_DEP_2)
	v_sub_nc_u32_e32 v18, v13, v11
	s_wait_alu 0xfffd
	v_sub_co_ci_u32_e64 v11, null, v13, v11, vcc_lo
	v_subrev_co_ci_u32_e64 v12, null, s11, v18, vcc_lo
	v_add_co_u32 v18, s0, v3, 2
	s_wait_alu 0xf1ff
	v_add_co_ci_u32_e64 v19, null, 0, v17, s0
	v_sub_co_u32 v20, s0, v10, s10
	s_wait_alu 0xf1ff
	v_subrev_co_ci_u32_e64 v12, null, 0, v12, s0
	v_cmp_eq_u32_e64 s0, s11, v11
	s_delay_alu instid0(VALU_DEP_3)
	v_cmp_le_u32_e32 vcc_lo, s10, v20
	s_wait_alu 0xfffd
	v_cndmask_b32_e64 v13, 0, -1, vcc_lo
	v_cmp_le_u32_e32 vcc_lo, s11, v12
	s_wait_alu 0xfffd
	v_cndmask_b32_e64 v20, 0, -1, vcc_lo
	;; [unrolled: 3-line block ×4, first 2 shown]
	v_cmp_eq_u32_e32 vcc_lo, s11, v12
	s_wait_alu 0xf1ff
	s_delay_alu instid0(VALU_DEP_2)
	v_cndmask_b32_e64 v10, v21, v10, s0
	s_wait_alu 0xfffd
	v_cndmask_b32_e32 v12, v20, v13, vcc_lo
	v_add_co_u32 v13, vcc_lo, v3, 1
	s_wait_alu 0xfffd
	v_add_co_ci_u32_e64 v20, null, 0, v17, vcc_lo
	s_delay_alu instid0(VALU_DEP_3) | instskip(SKIP_1) | instid1(VALU_DEP_2)
	v_cmp_ne_u32_e32 vcc_lo, 0, v12
	s_wait_alu 0xfffd
	v_dual_cndmask_b32 v11, v20, v19 :: v_dual_cndmask_b32 v12, v13, v18
	v_cmp_ne_u32_e32 vcc_lo, 0, v10
	s_wait_alu 0xfffd
	s_delay_alu instid0(VALU_DEP_2)
	v_dual_cndmask_b32 v11, v17, v11 :: v_dual_cndmask_b32 v10, v3, v12
                                        ; implicit-def: $vgpr12
.LBB11_14:                              ;   in Loop: Header=BB11_4 Depth=1
	s_wait_alu 0xfffe
	s_and_not1_saveexec_b32 s0, s1
	s_cbranch_execz .LBB11_16
; %bb.15:                               ;   in Loop: Header=BB11_4 Depth=1
	v_cvt_f32_u32_e32 v3, s10
	s_sub_co_i32 s1, 0, s10
	s_delay_alu instid0(VALU_DEP_1) | instskip(NEXT) | instid1(TRANS32_DEP_1)
	v_rcp_iflag_f32_e32 v3, v3
	v_mul_f32_e32 v3, 0x4f7ffffe, v3
	s_delay_alu instid0(VALU_DEP_1) | instskip(SKIP_1) | instid1(VALU_DEP_1)
	v_cvt_u32_f32_e32 v3, v3
	s_wait_alu 0xfffe
	v_mul_lo_u32 v10, s1, v3
	s_delay_alu instid0(VALU_DEP_1) | instskip(NEXT) | instid1(VALU_DEP_1)
	v_mul_hi_u32 v10, v3, v10
	v_add_nc_u32_e32 v3, v3, v10
	s_delay_alu instid0(VALU_DEP_1) | instskip(NEXT) | instid1(VALU_DEP_1)
	v_mul_hi_u32 v3, v12, v3
	v_mul_lo_u32 v10, v3, s10
	v_add_nc_u32_e32 v11, 1, v3
	s_delay_alu instid0(VALU_DEP_2) | instskip(NEXT) | instid1(VALU_DEP_1)
	v_sub_nc_u32_e32 v10, v12, v10
	v_subrev_nc_u32_e32 v12, s10, v10
	v_cmp_le_u32_e32 vcc_lo, s10, v10
	s_wait_alu 0xfffd
	s_delay_alu instid0(VALU_DEP_2) | instskip(NEXT) | instid1(VALU_DEP_1)
	v_dual_cndmask_b32 v10, v10, v12 :: v_dual_cndmask_b32 v3, v3, v11
	v_cmp_le_u32_e32 vcc_lo, s10, v10
	s_delay_alu instid0(VALU_DEP_2) | instskip(SKIP_1) | instid1(VALU_DEP_1)
	v_add_nc_u32_e32 v11, 1, v3
	s_wait_alu 0xfffd
	v_dual_cndmask_b32 v10, v3, v11 :: v_dual_mov_b32 v11, v2
.LBB11_16:                              ;   in Loop: Header=BB11_4 Depth=1
	s_wait_alu 0xfffe
	s_or_b32 exec_lo, exec_lo, s0
	v_mul_lo_u32 v3, v7, s26
	v_mul_lo_u32 v12, v6, s27
	v_mad_co_u64_u32 v[6:7], null, v6, s26, 0
	s_mov_b32 s0, exec_lo
	v_add3_u32 v3, v7, v12, v3
	v_sub_co_u32 v6, vcc_lo, v0, v6
	s_wait_alu 0xfffd
	s_delay_alu instid0(VALU_DEP_2) | instskip(NEXT) | instid1(VALU_DEP_2)
	v_sub_co_ci_u32_e64 v3, null, v1, v3, vcc_lo
	v_mul_lo_u32 v7, v6, s45
	v_mad_co_u64_u32 v[12:13], null, v6, s46, 0
	s_delay_alu instid0(VALU_DEP_3) | instskip(NEXT) | instid1(VALU_DEP_2)
	v_mul_lo_u32 v3, v3, s46
	v_sub_co_u32 v6, vcc_lo, v12, s48
	s_delay_alu instid0(VALU_DEP_2) | instskip(SKIP_1) | instid1(VALU_DEP_1)
	v_add3_u32 v13, v13, v7, v3
	s_wait_alu 0xfffd
	v_subrev_co_ci_u32_e64 v7, null, s47, v13, vcc_lo
	s_delay_alu instid0(VALU_DEP_1) | instskip(SKIP_3) | instid1(VALU_DEP_2)
	v_cmp_lt_i64_e32 vcc_lo, 0, v[6:7]
	s_wait_alu 0xfffd
	v_cndmask_b32_e32 v17, 0, v6, vcc_lo
	v_cndmask_b32_e32 v3, 0, v7, vcc_lo
	v_add_co_u32 v18, vcc_lo, v17, s48
	s_wait_alu 0xfffd
	s_delay_alu instid0(VALU_DEP_2) | instskip(NEXT) | instid1(VALU_DEP_1)
	v_add_co_ci_u32_e64 v19, null, s47, v3, vcc_lo
	v_cmp_ne_u64_e32 vcc_lo, v[18:19], v[12:13]
	s_wait_alu 0xfffd
	v_cndmask_b32_e64 v17, 0, 1, vcc_lo
	s_delay_alu instid0(VALU_DEP_1) | instskip(SKIP_2) | instid1(VALU_DEP_2)
	v_add_co_u32 v3, vcc_lo, v12, v17
	s_wait_alu 0xfffd
	v_add_co_ci_u32_e64 v12, null, 0, v13, vcc_lo
	v_sub_co_u32 v18, vcc_lo, v18, v3
	s_wait_alu 0xfffd
	s_delay_alu instid0(VALU_DEP_2) | instskip(NEXT) | instid1(VALU_DEP_1)
	v_sub_co_ci_u32_e64 v19, null, v19, v12, vcc_lo
                                        ; implicit-def: $vgpr12_vgpr13
	v_or_b32_e32 v3, s29, v19
	s_delay_alu instid0(VALU_DEP_1)
	v_cmpx_ne_u64_e32 0, v[2:3]
	s_wait_alu 0xfffe
	s_xor_b32 s1, exec_lo, s0
	s_cbranch_execz .LBB11_18
; %bb.17:                               ;   in Loop: Header=BB11_4 Depth=1
	s_cvt_f32_u32 s0, s28
	s_cvt_f32_u32 s2, s29
	s_sub_nc_u64 s[40:41], 0, s[28:29]
	s_wait_alu 0xfffe
	s_delay_alu instid0(SALU_CYCLE_1) | instskip(SKIP_1) | instid1(SALU_CYCLE_2)
	s_fmamk_f32 s0, s2, 0x4f800000, s0
	s_wait_alu 0xfffe
	v_s_rcp_f32 s0, s0
	s_delay_alu instid0(TRANS32_DEP_1) | instskip(SKIP_1) | instid1(SALU_CYCLE_2)
	s_mul_f32 s0, s0, 0x5f7ffffc
	s_wait_alu 0xfffe
	s_mul_f32 s2, s0, 0x2f800000
	s_wait_alu 0xfffe
	s_delay_alu instid0(SALU_CYCLE_2) | instskip(SKIP_1) | instid1(SALU_CYCLE_2)
	s_trunc_f32 s2, s2
	s_wait_alu 0xfffe
	s_fmamk_f32 s0, s2, 0xcf800000, s0
	s_cvt_u32_f32 s39, s2
	s_wait_alu 0xfffe
	s_delay_alu instid0(SALU_CYCLE_1) | instskip(SKIP_1) | instid1(SALU_CYCLE_2)
	s_cvt_u32_f32 s38, s0
	s_wait_alu 0xfffe
	s_mul_u64 s[52:53], s[40:41], s[38:39]
	s_delay_alu instid0(SALU_CYCLE_1)
	s_mul_hi_u32 s55, s38, s53
	s_mul_i32 s54, s38, s53
	s_mul_hi_u32 s2, s38, s52
	s_mul_i32 s37, s39, s52
	s_wait_alu 0xfffe
	s_add_nc_u64 s[54:55], s[2:3], s[54:55]
	s_mul_hi_u32 s0, s39, s52
	s_mul_hi_u32 s56, s39, s53
	s_add_co_u32 s2, s54, s37
	s_wait_alu 0xfffe
	s_add_co_ci_u32 s2, s55, s0
	s_mul_i32 s52, s39, s53
	s_add_co_ci_u32 s53, s56, 0
	s_wait_alu 0xfffe
	s_add_nc_u64 s[52:53], s[2:3], s[52:53]
	s_delay_alu instid0(SALU_CYCLE_1)
	s_add_co_u32 s38, s38, s52
	s_cselect_b32 s0, -1, 0
	s_wait_alu 0xfffe
	s_cmp_lg_u32 s0, 0
	s_add_co_ci_u32 s39, s39, s53
	s_wait_alu 0xfffe
	s_mul_u64 s[40:41], s[40:41], s[38:39]
	s_wait_alu 0xfffe
	s_mul_hi_u32 s53, s38, s41
	s_mul_i32 s52, s38, s41
	s_mul_hi_u32 s2, s38, s40
	s_mul_i32 s37, s39, s40
	s_wait_alu 0xfffe
	s_add_nc_u64 s[52:53], s[2:3], s[52:53]
	s_mul_hi_u32 s0, s39, s40
	s_mul_hi_u32 s54, s39, s41
	s_add_co_u32 s2, s52, s37
	s_wait_alu 0xfffe
	s_add_co_ci_u32 s2, s53, s0
	s_mul_i32 s40, s39, s41
	s_add_co_ci_u32 s41, s54, 0
	s_wait_alu 0xfffe
	s_add_nc_u64 s[40:41], s[2:3], s[40:41]
	s_wait_alu 0xfffe
	s_add_co_u32 s0, s38, s40
	s_cselect_b32 s2, -1, 0
	s_wait_alu 0xfffe
	v_mul_hi_u32 v3, v18, s0
	s_cmp_lg_u32 s2, 0
	v_mad_co_u64_u32 v[20:21], null, v19, s0, 0
	s_add_co_ci_u32 s2, s39, s41
	s_wait_alu 0xfffe
	v_mad_co_u64_u32 v[12:13], null, v18, s2, 0
	v_mad_co_u64_u32 v[22:23], null, v19, s2, 0
	s_delay_alu instid0(VALU_DEP_2) | instskip(SKIP_1) | instid1(VALU_DEP_3)
	v_add_co_u32 v3, vcc_lo, v3, v12
	s_wait_alu 0xfffd
	v_add_co_ci_u32_e64 v12, null, 0, v13, vcc_lo
	s_delay_alu instid0(VALU_DEP_2) | instskip(SKIP_1) | instid1(VALU_DEP_2)
	v_add_co_u32 v3, vcc_lo, v3, v20
	s_wait_alu 0xfffd
	v_add_co_ci_u32_e32 v3, vcc_lo, v12, v21, vcc_lo
	s_wait_alu 0xfffd
	v_add_co_ci_u32_e32 v12, vcc_lo, 0, v23, vcc_lo
	s_delay_alu instid0(VALU_DEP_2) | instskip(SKIP_1) | instid1(VALU_DEP_2)
	v_add_co_u32 v3, vcc_lo, v3, v22
	s_wait_alu 0xfffd
	v_add_co_ci_u32_e64 v20, null, 0, v12, vcc_lo
	s_delay_alu instid0(VALU_DEP_2) | instskip(SKIP_1) | instid1(VALU_DEP_3)
	v_mul_lo_u32 v21, s29, v3
	v_mad_co_u64_u32 v[12:13], null, s28, v3, 0
	v_mul_lo_u32 v22, s28, v20
	s_delay_alu instid0(VALU_DEP_2) | instskip(NEXT) | instid1(VALU_DEP_2)
	v_sub_co_u32 v12, vcc_lo, v18, v12
	v_add3_u32 v13, v13, v22, v21
	s_delay_alu instid0(VALU_DEP_1) | instskip(SKIP_2) | instid1(VALU_DEP_2)
	v_sub_nc_u32_e32 v21, v19, v13
	s_wait_alu 0xfffd
	v_sub_co_ci_u32_e64 v13, null, v19, v13, vcc_lo
	v_subrev_co_ci_u32_e64 v18, null, s29, v21, vcc_lo
	v_add_co_u32 v21, s0, v3, 2
	s_wait_alu 0xf1ff
	v_add_co_ci_u32_e64 v22, null, 0, v20, s0
	v_sub_co_u32 v23, s0, v12, s28
	s_wait_alu 0xf1ff
	v_subrev_co_ci_u32_e64 v18, null, 0, v18, s0
	v_cmp_eq_u32_e64 s0, s29, v13
	s_delay_alu instid0(VALU_DEP_3)
	v_cmp_le_u32_e32 vcc_lo, s28, v23
	s_wait_alu 0xfffd
	v_cndmask_b32_e64 v19, 0, -1, vcc_lo
	v_cmp_le_u32_e32 vcc_lo, s29, v18
	s_wait_alu 0xfffd
	v_cndmask_b32_e64 v23, 0, -1, vcc_lo
	;; [unrolled: 3-line block ×4, first 2 shown]
	v_cmp_eq_u32_e32 vcc_lo, s29, v18
	s_wait_alu 0xf1ff
	s_delay_alu instid0(VALU_DEP_2)
	v_cndmask_b32_e64 v12, v24, v12, s0
	s_wait_alu 0xfffd
	v_cndmask_b32_e32 v18, v23, v19, vcc_lo
	v_add_co_u32 v19, vcc_lo, v3, 1
	s_wait_alu 0xfffd
	v_add_co_ci_u32_e64 v23, null, 0, v20, vcc_lo
	s_delay_alu instid0(VALU_DEP_3) | instskip(SKIP_1) | instid1(VALU_DEP_2)
	v_cmp_ne_u32_e32 vcc_lo, 0, v18
	s_wait_alu 0xfffd
	v_cndmask_b32_e32 v13, v23, v22, vcc_lo
	v_cndmask_b32_e32 v18, v19, v21, vcc_lo
	v_cmp_ne_u32_e32 vcc_lo, 0, v12
	s_wait_alu 0xfffd
	s_delay_alu instid0(VALU_DEP_2)
	v_dual_cndmask_b32 v13, v20, v13 :: v_dual_cndmask_b32 v12, v3, v18
                                        ; implicit-def: $vgpr18
.LBB11_18:                              ;   in Loop: Header=BB11_4 Depth=1
	s_wait_alu 0xfffe
	s_and_not1_saveexec_b32 s0, s1
	s_cbranch_execz .LBB11_20
; %bb.19:                               ;   in Loop: Header=BB11_4 Depth=1
	v_cvt_f32_u32_e32 v3, s28
	s_sub_co_i32 s1, 0, s28
	s_delay_alu instid0(VALU_DEP_1) | instskip(NEXT) | instid1(TRANS32_DEP_1)
	v_rcp_iflag_f32_e32 v3, v3
	v_mul_f32_e32 v3, 0x4f7ffffe, v3
	s_delay_alu instid0(VALU_DEP_1) | instskip(SKIP_1) | instid1(VALU_DEP_1)
	v_cvt_u32_f32_e32 v3, v3
	s_wait_alu 0xfffe
	v_mul_lo_u32 v12, s1, v3
	s_delay_alu instid0(VALU_DEP_1) | instskip(NEXT) | instid1(VALU_DEP_1)
	v_mul_hi_u32 v12, v3, v12
	v_add_nc_u32_e32 v3, v3, v12
	s_delay_alu instid0(VALU_DEP_1) | instskip(NEXT) | instid1(VALU_DEP_1)
	v_mul_hi_u32 v3, v18, v3
	v_mul_lo_u32 v12, v3, s28
	v_add_nc_u32_e32 v13, 1, v3
	s_delay_alu instid0(VALU_DEP_2) | instskip(NEXT) | instid1(VALU_DEP_1)
	v_sub_nc_u32_e32 v12, v18, v12
	v_subrev_nc_u32_e32 v18, s28, v12
	v_cmp_le_u32_e32 vcc_lo, s28, v12
	s_wait_alu 0xfffd
	s_delay_alu instid0(VALU_DEP_2) | instskip(NEXT) | instid1(VALU_DEP_1)
	v_dual_cndmask_b32 v12, v12, v18 :: v_dual_cndmask_b32 v3, v3, v13
	v_cmp_le_u32_e32 vcc_lo, s28, v12
	s_delay_alu instid0(VALU_DEP_2) | instskip(SKIP_1) | instid1(VALU_DEP_1)
	v_add_nc_u32_e32 v13, 1, v3
	s_wait_alu 0xfffd
	v_dual_cndmask_b32 v12, v3, v13 :: v_dual_mov_b32 v13, v2
.LBB11_20:                              ;   in Loop: Header=BB11_4 Depth=1
	s_wait_alu 0xfffe
	s_or_b32 exec_lo, exec_lo, s0
	v_add_co_u32 v3, vcc_lo, v10, v14
	s_wait_alu 0xfffd
	v_add_co_ci_u32_e64 v10, null, 0, v11, vcc_lo
	v_add_co_u32 v11, vcc_lo, v12, v17
	s_wait_alu 0xfffd
	v_add_co_ci_u32_e64 v12, null, 0, v13, vcc_lo
	v_mul_lo_u32 v14, v3, s7
	v_mul_lo_u32 v13, v10, s6
	v_mad_co_u64_u32 v[9:10], null, v3, s6, v[8:9]
	v_mul_lo_u32 v3, v11, s9
	v_mul_lo_u32 v17, v12, s8
	v_mad_co_u64_u32 v[11:12], null, v11, s8, v[6:7]
	s_mov_b32 s37, exec_lo
	v_add3_u32 v7, v13, v10, v14
	v_add3_u32 v12, v17, v12, v3
	v_add_nc_u32_e32 v3, s49, v8
	s_delay_alu instid0(VALU_DEP_3) | instskip(NEXT) | instid1(VALU_DEP_3)
	v_mul_lo_u32 v10, v7, s18
	v_mad_co_u64_u32 v[7:8], null, v9, s18, v[11:12]
	v_mul_lo_u32 v12, v9, s19
	s_delay_alu instid0(VALU_DEP_1) | instskip(SKIP_2) | instid1(VALU_DEP_1)
	v_add3_u32 v8, v10, v8, v12
	v_mov_b32_e32 v10, 0xfffffc00
	v_min_i32_e32 v17, s16, v3
	v_cmpx_gt_i32_e64 v17, v9
	s_cbranch_execz .LBB11_3
; %bb.21:                               ;   in Loop: Header=BB11_4 Depth=1
	v_mad_co_u64_u32 v[13:14], null, s30, v4, s[14:15]
	v_mul_lo_u32 v5, s30, v5
	v_mul_lo_u32 v4, s31, v4
	v_dual_mov_b32 v10, 0xfffffc00 :: v_dual_add_nc_u32 v3, s50, v6
	s_mov_b32 s38, 0
	s_delay_alu instid0(VALU_DEP_1) | instskip(SKIP_1) | instid1(VALU_DEP_4)
	v_min_i32_e32 v18, s18, v3
	v_ashrrev_i32_e32 v3, 31, v9
	v_add3_u32 v14, v4, v14, v5
	s_delay_alu instid0(VALU_DEP_3)
	v_cmp_gt_i32_e32 vcc_lo, v18, v11
	s_branch .LBB11_23
.LBB11_22:                              ;   in Loop: Header=BB11_23 Depth=2
	s_wait_alu 0xfffe
	s_or_b32 exec_lo, exec_lo, s39
	v_add_nc_u32_e32 v9, s24, v9
	s_delay_alu instid0(VALU_DEP_1)
	v_cmp_ge_i32_e64 s0, v9, v17
	v_ashrrev_i32_e32 v3, 31, v9
	s_or_b32 s38, s0, s38
	s_wait_alu 0xfffe
	s_and_not1_b32 exec_lo, exec_lo, s38
	s_cbranch_execz .LBB11_2
.LBB11_23:                              ;   Parent Loop BB11_4 Depth=1
                                        ; =>  This Loop Header: Depth=2
                                        ;       Child Loop BB11_25 Depth 3
	s_and_saveexec_b32 s39, vcc_lo
	s_cbranch_execz .LBB11_22
; %bb.24:                               ;   in Loop: Header=BB11_23 Depth=2
	v_ashrrev_i32_e32 v12, 31, v11
	v_mul_lo_u32 v5, v9, s19
	v_mul_lo_u32 v6, v3, s18
	s_mov_b32 s40, 0
	s_delay_alu instid0(VALU_DEP_3) | instskip(SKIP_1) | instid1(VALU_DEP_2)
	v_mad_co_u64_u32 v[3:4], null, v9, s18, v[11:12]
	v_mov_b32_e32 v12, v11
	v_add3_u32 v4, v6, v4, v5
	s_delay_alu instid0(VALU_DEP_1) | instskip(NEXT) | instid1(VALU_DEP_1)
	v_lshlrev_b64_e32 v[5:6], 1, v[3:4]
	v_add_co_u32 v5, s0, v13, v5
	s_wait_alu 0xf1ff
	s_delay_alu instid0(VALU_DEP_2)
	v_add_co_ci_u32_e64 v6, null, v14, v6, s0
.LBB11_25:                              ;   Parent Loop BB11_4 Depth=1
                                        ;     Parent Loop BB11_23 Depth=2
                                        ; =>    This Inner Loop Header: Depth=3
	global_load_u16 v19, v[5:6], off
	v_add_nc_u32_e32 v12, s25, v12
	v_add_co_u32 v5, s0, v5, s34
	s_wait_alu 0xf1ff
	v_add_co_ci_u32_e64 v6, null, s35, v6, s0
	s_delay_alu instid0(VALU_DEP_3)
	v_cmp_ge_i32_e64 s0, v12, v18
	s_wait_loadcnt 0x0
	v_cmp_gt_f16_e64 s1, v19, v10
	v_cmp_u_f16_e64 s2, v19, v19
	s_or_b32 s1, s1, s2
	s_wait_alu 0xfffe
	s_or_b32 s40, s0, s40
	v_cndmask_b32_e64 v10, v10, v19, s1
	v_cndmask_b32_e64 v8, v8, v4, s1
	;; [unrolled: 1-line block ×3, first 2 shown]
	v_add_co_u32 v3, s1, v3, s8
	s_wait_alu 0xf1ff
	v_add_co_ci_u32_e64 v4, null, s9, v4, s1
	s_wait_alu 0xfffe
	s_and_not1_b32 exec_lo, exec_lo, s40
	s_cbranch_execnz .LBB11_25
; %bb.26:                               ;   in Loop: Header=BB11_23 Depth=2
	s_or_b32 exec_lo, exec_lo, s40
	s_branch .LBB11_22
.LBB11_27:
	s_endpgm
	.section	.rodata,"a",@progbits
	.p2align	6, 0x0
	.amdhsa_kernel _ZN2at6native12_GLOBAL__N_121max_pool_forward_nchwIN3c104HalfElEEvT0_PKT_llliiiiiiiiiiPS6_Pl
		.amdhsa_group_segment_fixed_size 0
		.amdhsa_private_segment_fixed_size 0
		.amdhsa_kernarg_size 352
		.amdhsa_user_sgpr_count 2
		.amdhsa_user_sgpr_dispatch_ptr 0
		.amdhsa_user_sgpr_queue_ptr 0
		.amdhsa_user_sgpr_kernarg_segment_ptr 1
		.amdhsa_user_sgpr_dispatch_id 0
		.amdhsa_user_sgpr_private_segment_size 0
		.amdhsa_wavefront_size32 1
		.amdhsa_uses_dynamic_stack 0
		.amdhsa_enable_private_segment 0
		.amdhsa_system_sgpr_workgroup_id_x 1
		.amdhsa_system_sgpr_workgroup_id_y 0
		.amdhsa_system_sgpr_workgroup_id_z 0
		.amdhsa_system_sgpr_workgroup_info 0
		.amdhsa_system_vgpr_workitem_id 0
		.amdhsa_next_free_vgpr 25
		.amdhsa_next_free_sgpr 60
		.amdhsa_reserve_vcc 1
		.amdhsa_float_round_mode_32 0
		.amdhsa_float_round_mode_16_64 0
		.amdhsa_float_denorm_mode_32 3
		.amdhsa_float_denorm_mode_16_64 3
		.amdhsa_fp16_overflow 0
		.amdhsa_workgroup_processor_mode 1
		.amdhsa_memory_ordered 1
		.amdhsa_forward_progress 1
		.amdhsa_inst_pref_size 40
		.amdhsa_round_robin_scheduling 0
		.amdhsa_exception_fp_ieee_invalid_op 0
		.amdhsa_exception_fp_denorm_src 0
		.amdhsa_exception_fp_ieee_div_zero 0
		.amdhsa_exception_fp_ieee_overflow 0
		.amdhsa_exception_fp_ieee_underflow 0
		.amdhsa_exception_fp_ieee_inexact 0
		.amdhsa_exception_int_div_zero 0
	.end_amdhsa_kernel
	.section	.text._ZN2at6native12_GLOBAL__N_121max_pool_forward_nchwIN3c104HalfElEEvT0_PKT_llliiiiiiiiiiPS6_Pl,"axG",@progbits,_ZN2at6native12_GLOBAL__N_121max_pool_forward_nchwIN3c104HalfElEEvT0_PKT_llliiiiiiiiiiPS6_Pl,comdat
.Lfunc_end11:
	.size	_ZN2at6native12_GLOBAL__N_121max_pool_forward_nchwIN3c104HalfElEEvT0_PKT_llliiiiiiiiiiPS6_Pl, .Lfunc_end11-_ZN2at6native12_GLOBAL__N_121max_pool_forward_nchwIN3c104HalfElEEvT0_PKT_llliiiiiiiiiiPS6_Pl
                                        ; -- End function
	.set _ZN2at6native12_GLOBAL__N_121max_pool_forward_nchwIN3c104HalfElEEvT0_PKT_llliiiiiiiiiiPS6_Pl.num_vgpr, 25
	.set _ZN2at6native12_GLOBAL__N_121max_pool_forward_nchwIN3c104HalfElEEvT0_PKT_llliiiiiiiiiiPS6_Pl.num_agpr, 0
	.set _ZN2at6native12_GLOBAL__N_121max_pool_forward_nchwIN3c104HalfElEEvT0_PKT_llliiiiiiiiiiPS6_Pl.numbered_sgpr, 60
	.set _ZN2at6native12_GLOBAL__N_121max_pool_forward_nchwIN3c104HalfElEEvT0_PKT_llliiiiiiiiiiPS6_Pl.num_named_barrier, 0
	.set _ZN2at6native12_GLOBAL__N_121max_pool_forward_nchwIN3c104HalfElEEvT0_PKT_llliiiiiiiiiiPS6_Pl.private_seg_size, 0
	.set _ZN2at6native12_GLOBAL__N_121max_pool_forward_nchwIN3c104HalfElEEvT0_PKT_llliiiiiiiiiiPS6_Pl.uses_vcc, 1
	.set _ZN2at6native12_GLOBAL__N_121max_pool_forward_nchwIN3c104HalfElEEvT0_PKT_llliiiiiiiiiiPS6_Pl.uses_flat_scratch, 0
	.set _ZN2at6native12_GLOBAL__N_121max_pool_forward_nchwIN3c104HalfElEEvT0_PKT_llliiiiiiiiiiPS6_Pl.has_dyn_sized_stack, 0
	.set _ZN2at6native12_GLOBAL__N_121max_pool_forward_nchwIN3c104HalfElEEvT0_PKT_llliiiiiiiiiiPS6_Pl.has_recursion, 0
	.set _ZN2at6native12_GLOBAL__N_121max_pool_forward_nchwIN3c104HalfElEEvT0_PKT_llliiiiiiiiiiPS6_Pl.has_indirect_call, 0
	.section	.AMDGPU.csdata,"",@progbits
; Kernel info:
; codeLenInByte = 5084
; TotalNumSgprs: 62
; NumVgprs: 25
; ScratchSize: 0
; MemoryBound: 0
; FloatMode: 240
; IeeeMode: 1
; LDSByteSize: 0 bytes/workgroup (compile time only)
; SGPRBlocks: 0
; VGPRBlocks: 3
; NumSGPRsForWavesPerEU: 62
; NumVGPRsForWavesPerEU: 25
; Occupancy: 16
; WaveLimiterHint : 0
; COMPUTE_PGM_RSRC2:SCRATCH_EN: 0
; COMPUTE_PGM_RSRC2:USER_SGPR: 2
; COMPUTE_PGM_RSRC2:TRAP_HANDLER: 0
; COMPUTE_PGM_RSRC2:TGID_X_EN: 1
; COMPUTE_PGM_RSRC2:TGID_Y_EN: 0
; COMPUTE_PGM_RSRC2:TGID_Z_EN: 0
; COMPUTE_PGM_RSRC2:TIDIG_COMP_CNT: 0
	.section	.text._ZN2at6native12_GLOBAL__N_121max_pool_forward_nhwcIN3c108BFloat16EiEEvPKT_iT0_S8_S8_S8_S8_iiiiiiiiS8_S8_S8_S8_iiPS5_Pl,"axG",@progbits,_ZN2at6native12_GLOBAL__N_121max_pool_forward_nhwcIN3c108BFloat16EiEEvPKT_iT0_S8_S8_S8_S8_iiiiiiiiS8_S8_S8_S8_iiPS5_Pl,comdat
	.globl	_ZN2at6native12_GLOBAL__N_121max_pool_forward_nhwcIN3c108BFloat16EiEEvPKT_iT0_S8_S8_S8_S8_iiiiiiiiS8_S8_S8_S8_iiPS5_Pl ; -- Begin function _ZN2at6native12_GLOBAL__N_121max_pool_forward_nhwcIN3c108BFloat16EiEEvPKT_iT0_S8_S8_S8_S8_iiiiiiiiS8_S8_S8_S8_iiPS5_Pl
	.p2align	8
	.type	_ZN2at6native12_GLOBAL__N_121max_pool_forward_nhwcIN3c108BFloat16EiEEvPKT_iT0_S8_S8_S8_S8_iiiiiiiiS8_S8_S8_S8_iiPS5_Pl,@function
_ZN2at6native12_GLOBAL__N_121max_pool_forward_nhwcIN3c108BFloat16EiEEvPKT_iT0_S8_S8_S8_S8_iiiiiiiiS8_S8_S8_S8_iiPS5_Pl: ; @_ZN2at6native12_GLOBAL__N_121max_pool_forward_nhwcIN3c108BFloat16EiEEvPKT_iT0_S8_S8_S8_S8_iiiiiiiiS8_S8_S8_S8_iiPS5_Pl
; %bb.0:
	s_clause 0x1
	s_load_b128 s[4:7], s[0:1], 0x6c
	s_load_b128 s[24:27], s[0:1], 0x48
	v_bfe_u32 v3, v0, 10, 10
	v_bfe_u32 v1, v0, 20, 10
	v_and_b32_e32 v6, 0x3ff, v0
	s_mov_b32 s3, exec_lo
	s_wait_kmcnt 0x0
	s_lshr_b32 s30, s6, 16
	s_and_b32 s37, s6, 0xffff
	v_mad_u32_u24 v7, v1, s30, v3
	s_mul_i32 s6, s27, s37
	s_and_b32 s31, s7, 0xffff
	s_mul_i32 s2, s6, s30
	s_wait_alu 0xfffe
	s_mul_i32 s2, s2, s31
	v_mad_co_u64_u32 v[4:5], null, v7, s37, v[6:7]
	s_delay_alu instid0(VALU_DEP_1)
	v_cmpx_gt_u32_e64 s2, v4
	s_cbranch_execz .LBB12_3
; %bb.1:
	v_dual_mov_b32 v5, 0xffffff80 :: v_dual_lshlrev_b32 v2, 1, v4
	s_lshl_b32 s8, s2, 2
	s_mul_i32 s7, s30, s37
	v_lshl_add_u32 v0, v4, 2, 0
	s_delay_alu instid0(VALU_DEP_2)
	v_add3_u32 v2, 0, s8, v2
	v_mov_b32_e32 v8, 0
	s_mul_i32 s7, s7, s31
	s_mov_b32 s8, 0
	s_lshl_b32 s9, s7, 1
	s_lshl_b32 s10, s7, 2
.LBB12_2:                               ; =>This Inner Loop Header: Depth=1
	v_add_nc_u32_e32 v4, s7, v4
	ds_store_b16 v2, v5
	ds_store_b32 v0, v8
	s_wait_alu 0xfffe
	v_add_nc_u32_e32 v2, s9, v2
	v_add_nc_u32_e32 v0, s10, v0
	v_cmp_le_u32_e32 vcc_lo, s2, v4
	s_or_b32 s8, vcc_lo, s8
	s_wait_alu 0xfffe
	s_and_not1_b32 exec_lo, exec_lo, s8
	s_cbranch_execnz .LBB12_2
.LBB12_3:
	s_or_b32 exec_lo, exec_lo, s3
	s_cvt_f32_u32 s3, s5
	s_load_b512 s[8:23], s[0:1], 0x8
	s_sub_co_i32 s7, 0, s5
	s_wait_dscnt 0x0
	v_rcp_iflag_f32_e32 v0, s3
	s_barrier_signal -1
	s_barrier_wait -1
	global_inv scope:SCOPE_SE
	v_readfirstlane_b32 s3, v0
	s_mul_f32 s3, s3, 0x4f7ffffe
	s_wait_kmcnt 0x0
	s_add_co_i32 s28, s12, s5
	s_delay_alu instid0(SALU_CYCLE_1) | instskip(SKIP_3) | instid1(SALU_CYCLE_2)
	s_add_co_i32 s28, s28, -1
	s_wait_alu 0xfffe
	s_cvt_u32_f32 s3, s3
	s_wait_alu 0xfffe
	s_mul_i32 s7, s7, s3
	s_wait_alu 0xfffe
	s_mul_hi_u32 s7, s3, s7
	s_wait_alu 0xfffe
	s_add_co_i32 s3, s3, s7
	s_wait_alu 0xfffe
	s_mul_hi_u32 s3, s28, s3
	s_wait_alu 0xfffe
	s_mul_i32 s7, s3, s5
	s_wait_alu 0xfffe
	s_sub_co_i32 s7, s28, s7
	s_add_co_i32 s28, s3, 1
	s_wait_alu 0xfffe
	s_sub_co_i32 s29, s7, s5
	s_cmp_ge_u32 s7, s5
	s_cselect_b32 s3, s28, s3
	s_cselect_b32 s7, s29, s7
	s_wait_alu 0xfffe
	s_add_co_i32 s28, s3, 1
	s_cmp_ge_u32 s7, s5
	s_cvt_f32_u32 s7, s4
	s_cselect_b32 s3, s28, s3
	s_lshr_b32 s5, ttmp7, 16
	s_mov_b32 s29, 0
	s_wait_alu 0xfffe
	v_mad_co_u64_u32 v[0:1], null, s3, s5, v[1:2]
	s_cvt_f32_u32 s5, s8
	v_rcp_iflag_f32_e32 v2, s7
	s_mov_b32 s7, exec_lo
	s_wait_alu 0xfffe
	v_rcp_iflag_f32_e32 v1, s5
	v_add_nc_u32_e32 v4, s3, v0
	s_delay_alu instid0(TRANS32_DEP_2) | instskip(NEXT) | instid1(VALU_DEP_2)
	v_readfirstlane_b32 s3, v2
	v_min_i32_e32 v14, s12, v4
	s_delay_alu instid0(TRANS32_DEP_1) | instskip(NEXT) | instid1(VALU_DEP_2)
	v_readfirstlane_b32 s5, v1
	v_cmpx_lt_i32_e64 v0, v14
	s_cbranch_execz .LBB12_74
; %bb.4:
	s_mul_f32 s5, s5, 0x4f7ffffe
	s_mul_f32 s3, s3, 0x4f7ffffe
	s_sub_co_i32 s33, 0, s8
	s_sub_co_i32 s38, 0, s4
	s_wait_alu 0xfffe
	s_cvt_u32_f32 s5, s5
	s_cvt_u32_f32 s3, s3
	s_mov_b32 s28, ttmp9
	s_mov_b32 s35, s29
	s_wait_alu 0xfffe
	s_mul_i32 s33, s33, s5
	s_mul_i32 s38, s38, s3
	s_mul_hi_u32 s33, s5, s33
	s_lshl_b32 s2, s2, 2
	s_add_co_i32 s34, s5, s33
	s_mul_hi_u32 s5, s3, s38
	s_mul_u64 s[34:35], s[28:29], s[34:35]
	s_wait_alu 0xfffe
	s_add_co_i32 s42, s2, 0
	s_add_co_i32 s2, s3, s5
	s_mul_i32 s3, s35, s8
	s_add_co_i32 s36, s13, s4
	s_wait_alu 0xfffe
	s_sub_co_i32 s5, ttmp9, s3
	s_and_b32 s7, ttmp7, 0xffff
	s_add_co_i32 s28, s36, -1
	s_add_co_i32 s33, s35, 1
	s_wait_alu 0xfffe
	s_sub_co_i32 s34, s5, s8
	s_cmp_ge_u32 s5, s8
	s_mov_b32 s3, s29
	s_cselect_b32 s33, s33, s35
	s_cselect_b32 s5, s34, s5
	s_add_co_i32 s36, s33, 1
	s_wait_alu 0xfffe
	s_cmp_ge_u32 s5, s8
	s_mul_i32 s12, s12, s9
	s_cselect_b32 s5, s36, s33
	s_wait_alu 0xfffe
	s_mul_i32 s12, s12, s13
	s_mul_i32 s8, s5, s8
	s_mul_u64 s[38:39], s[28:29], s[2:3]
	s_wait_alu 0xfffe
	s_sub_co_i32 s8, ttmp9, s8
	v_mad_co_u64_u32 v[1:2], null, s5, s37, v[6:7]
	s_wait_alu 0xfffe
	s_mul_i32 s2, s12, s8
	s_mul_i32 s40, s8, s22
	;; [unrolled: 1-line block ×3, first 2 shown]
	s_ashr_i32 s41, s40, 31
	s_wait_alu 0xfffe
	s_sub_co_i32 s8, s28, s8
	s_ashr_i32 s3, s2, 31
	s_lshl_b64 s[40:41], s[40:41], 1
	s_add_co_i32 s12, s39, 1
	s_wait_alu 0xfffe
	s_sub_co_i32 s22, s8, s4
	s_cmp_ge_u32 s8, s4
	s_load_b64 s[34:35], s[0:1], 0x0
	s_cselect_b32 s5, s12, s39
	s_cselect_b32 s8, s22, s8
	s_wait_alu 0xfffe
	s_add_co_i32 s12, s5, 1
	s_cmp_ge_u32 s8, s4
	v_lshlrev_b32_e32 v12, 1, v7
	s_wait_alu 0xfffe
	s_cselect_b32 s4, s12, s5
	s_add_co_i32 s5, s14, -1
	s_wait_alu 0xfffe
	v_mad_co_u64_u32 v[3:4], null, s4, s7, v[3:4]
	s_mul_i32 s8, s20, s5
	s_add_co_i32 s5, s15, -1
	s_wait_alu 0xfffe
	s_add_co_i32 s8, s8, 1
	s_mul_i32 s28, s21, s5
	s_max_i32 s5, s14, s15
	s_add_co_i32 s28, s28, 1
	s_wait_alu 0xfffe
	s_cmp_lt_i32 s5, 4
	s_mul_i32 s12, s26, s37
	v_mul_lo_u32 v4, v1, s23
	s_cselect_b32 s22, -1, 0
	s_wait_alu 0xfffe
	s_cmp_le_u32 s9, s12
	v_dual_mov_b32 v26, 0xffffff80 :: v_dual_add_nc_u32 v5, s4, v3
	s_cselect_b32 s33, -1, 0
	s_max_u32 s26, s20, 1
	s_and_b32 s33, s22, s33
	s_cvt_f32_u32 s36, s26
	v_min_i32_e32 v15, s13, v5
	v_ashrrev_i32_e32 v5, 31, v4
	s_mul_i32 s22, s30, s31
	s_wait_alu 0xfffe
	v_rcp_iflag_f32_e32 v10, s36
	v_mul_lo_u32 v2, s6, v7
	v_mul_lo_u32 v7, s27, v7
	v_lshlrev_b64_e32 v[8:9], 1, v[4:5]
	v_lshl_add_u32 v5, s22, 2, v12
	s_load_b128 s[4:7], s[0:1], 0x58
	s_wait_kmcnt 0x0
	s_add_nc_u64 s[14:15], s[34:35], s[40:41]
	v_mov_b32_e32 v27, 0
	s_mul_i32 s35, s12, s23
	v_mul_lo_u32 v5, s27, v5
	v_readfirstlane_b32 s34, v10
	v_mul_lo_u32 v7, v7, s37
	v_lshlrev_b32_e32 v11, 1, v2
	v_lshlrev_b32_e32 v2, 2, v2
	v_add_co_u32 v16, vcc_lo, s14, v8
	s_mul_f32 s22, s34, 0x4f7ffffe
	v_lshlrev_b32_e32 v8, 1, v6
	v_lshlrev_b32_e32 v6, 2, v6
	v_mul_lo_u32 v5, v5, s37
	s_wait_alu 0xfffe
	s_cvt_u32_f32 s22, s22
	v_lshlrev_b32_e32 v7, 2, v7
	s_sub_co_i32 s34, 0, s26
	v_add3_u32 v19, 0, v2, v6
	v_ashrrev_i32_e32 v2, 31, v1
	s_wait_alu 0xfffe
	s_mul_i32 s34, s34, s22
	v_add3_u32 v21, v7, v6, 0
	s_mul_hi_u32 s34, s22, s34
	v_add3_u32 v20, v5, v8, 0
	v_lshlrev_b64_e32 v[5:6], 1, v[1:2]
	s_add_co_i32 s34, s22, s34
	s_lshl_b64 s[22:23], s[2:3], 1
	v_add3_u32 v18, s42, v11, v8
	s_wait_alu 0xfffe
	s_add_nc_u64 s[4:5], s[4:5], s[22:23]
	v_mad_co_u64_u32 v[7:8], null, s13, v0, v[3:4]
	v_add_co_ci_u32_e64 v17, null, s15, v9, vcc_lo
	s_wait_alu 0xfffe
	v_add_co_u32 v22, vcc_lo, s4, v5
	s_wait_alu 0xfffd
	v_add_co_ci_u32_e64 v23, null, s5, v6, vcc_lo
	v_lshlrev_b64_e32 v[5:6], 3, v[1:2]
	s_lshl_b64 s[2:3], s[2:3], 3
	v_mul_lo_u32 v24, s9, v7
	s_wait_alu 0xfffe
	s_add_nc_u64 s[2:3], s[6:7], s[2:3]
	v_cmp_lt_i32_e64 s0, v3, v15
	v_cmp_gt_i32_e64 s1, s9, v1
	s_wait_alu 0xfffe
	v_add_co_u32 v2, vcc_lo, s2, v5
	s_wait_alu 0xfffd
	v_add_co_ci_u32_e64 v25, null, s3, v6, vcc_lo
	s_mul_i32 s38, s13, s9
	s_ashr_i32 s13, s12, 31
	s_lshl_b32 s27, s21, 1
	s_lshl_b32 s36, s37, 1
	;; [unrolled: 1-line block ×3, first 2 shown]
	s_mul_i32 s38, s38, s31
	s_mul_i32 s39, s9, s30
	s_wait_alu 0xfffe
	s_lshl_b64 s[6:7], s[12:13], 1
	s_lshl_b64 s[22:23], s[12:13], 3
	s_branch .LBB12_6
.LBB12_5:                               ;   in Loop: Header=BB12_6 Depth=1
	s_wait_alu 0xfffe
	s_or_b32 exec_lo, exec_lo, s13
	v_add_nc_u32_e32 v0, s31, v0
	v_add_nc_u32_e32 v24, s38, v24
	s_delay_alu instid0(VALU_DEP_2)
	v_cmp_ge_i32_e32 vcc_lo, v0, v14
	s_or_b32 s29, vcc_lo, s29
	s_wait_alu 0xfffe
	s_and_not1_b32 exec_lo, exec_lo, s29
	s_cbranch_execz .LBB12_74
.LBB12_6:                               ; =>This Loop Header: Depth=1
                                        ;     Child Loop BB12_9 Depth 2
                                        ;       Child Loop BB12_10 Depth 3
                                        ;       Child Loop BB12_63 Depth 3
                                        ;         Child Loop BB12_66 Depth 4
                                        ;           Child Loop BB12_69 Depth 5
                                        ;       Child Loop BB12_73 Depth 3
	s_and_saveexec_b32 s13, s0
	s_cbranch_execz .LBB12_5
; %bb.7:                                ;   in Loop: Header=BB12_6 Depth=1
	v_mul_lo_u32 v5, v0, s16
	v_mov_b32_e32 v29, v3
	s_mov_b32 s40, 0
	v_mov_b32_e32 v7, v24
	s_delay_alu instid0(VALU_DEP_3) | instskip(NEXT) | instid1(VALU_DEP_1)
	v_subrev_nc_u32_e32 v5, s18, v5
	v_add_nc_u32_e32 v6, s8, v5
	s_delay_alu instid0(VALU_DEP_1)
	v_min_i32_e32 v28, s10, v6
	s_branch .LBB12_9
.LBB12_8:                               ;   in Loop: Header=BB12_9 Depth=2
	s_wait_alu 0xfffe
	s_or_b32 exec_lo, exec_lo, s3
	v_add_nc_u32_e32 v29, s30, v29
	v_add_nc_u32_e32 v7, s39, v7
	s_delay_alu instid0(VALU_DEP_2) | instskip(SKIP_1) | instid1(SALU_CYCLE_1)
	v_cmp_ge_i32_e32 vcc_lo, v29, v15
	s_or_b32 s40, vcc_lo, s40
	s_and_not1_b32 exec_lo, exec_lo, s40
	s_cbranch_execz .LBB12_5
.LBB12_9:                               ;   Parent Loop BB12_6 Depth=1
                                        ; =>  This Loop Header: Depth=2
                                        ;       Child Loop BB12_10 Depth 3
                                        ;       Child Loop BB12_63 Depth 3
                                        ;         Child Loop BB12_66 Depth 4
                                        ;           Child Loop BB12_69 Depth 5
                                        ;       Child Loop BB12_73 Depth 3
	v_mul_lo_u32 v6, v29, s17
	s_mov_b32 s2, 0
	s_wait_loadcnt 0x0
	s_delay_alu instid0(VALU_DEP_1) | instskip(NEXT) | instid1(VALU_DEP_1)
	v_subrev_nc_u32_e32 v8, s19, v6
	v_mov_b32_e32 v31, v8
.LBB12_10:                              ;   Parent Loop BB12_6 Depth=1
                                        ;     Parent Loop BB12_9 Depth=2
                                        ; =>    This Inner Loop Header: Depth=3
	s_delay_alu instid0(VALU_DEP_1) | instskip(NEXT) | instid1(VALU_DEP_1)
	v_mov_b32_e32 v30, v31
	v_cmp_lt_i32_e32 vcc_lo, -1, v30
	v_add_nc_u32_e32 v31, s21, v30
	s_wait_alu 0xfffe
	s_or_b32 s2, vcc_lo, s2
	s_wait_alu 0xfffe
	s_and_not1_b32 exec_lo, exec_lo, s2
	s_cbranch_execnz .LBB12_10
; %bb.11:                               ;   in Loop: Header=BB12_9 Depth=2
	s_or_b32 exec_lo, exec_lo, s2
	v_lshrrev_b32_e32 v6, 31, v5
	v_max_i32_e32 v9, 0, v5
	s_mov_b32 s2, -1
	s_delay_alu instid0(VALU_DEP_2) | instskip(NEXT) | instid1(VALU_DEP_1)
	v_add_nc_u32_e32 v10, v5, v6
	v_sub_nc_u32_e32 v9, v9, v10
	s_delay_alu instid0(VALU_DEP_1) | instskip(NEXT) | instid1(VALU_DEP_1)
	v_mul_hi_u32 v10, v9, s34
	v_mul_lo_u32 v11, v10, s26
	s_delay_alu instid0(VALU_DEP_1) | instskip(SKIP_1) | instid1(VALU_DEP_2)
	v_sub_nc_u32_e32 v9, v9, v11
	v_add_nc_u32_e32 v11, 1, v10
	v_subrev_nc_u32_e32 v12, s26, v9
	v_cmp_le_u32_e32 vcc_lo, s26, v9
	s_wait_alu 0xfffd
	s_delay_alu instid0(VALU_DEP_2) | instskip(NEXT) | instid1(VALU_DEP_1)
	v_dual_cndmask_b32 v10, v10, v11 :: v_dual_cndmask_b32 v9, v9, v12
	v_add_nc_u32_e32 v11, 1, v10
	s_delay_alu instid0(VALU_DEP_2) | instskip(SKIP_1) | instid1(VALU_DEP_2)
	v_cmp_le_u32_e32 vcc_lo, s26, v9
	s_wait_alu 0xfffd
	v_cndmask_b32_e32 v9, v10, v11, vcc_lo
	s_and_b32 vcc_lo, exec_lo, s33
	s_delay_alu instid0(VALU_DEP_1) | instskip(NEXT) | instid1(VALU_DEP_1)
	v_add_nc_u32_e32 v6, v6, v9
	v_mad_co_u64_u32 v[5:6], null, s20, v6, v[5:6]
	v_add_nc_u32_e32 v6, s28, v8
	s_delay_alu instid0(VALU_DEP_1) | instskip(NEXT) | instid1(VALU_DEP_3)
	v_min_i32_e32 v6, s11, v6
	v_cmp_lt_i32_e64 s4, v5, v28
	s_wait_alu 0xfffe
	s_cbranch_vccnz .LBB12_14
; %bb.12:                               ;   in Loop: Header=BB12_9 Depth=2
	s_and_b32 vcc_lo, exec_lo, s2
	s_wait_alu 0xfffe
	s_cbranch_vccnz .LBB12_60
.LBB12_13:                              ;   in Loop: Header=BB12_9 Depth=2
	s_and_saveexec_b32 s3, s1
	s_cbranch_execz .LBB12_8
	s_branch .LBB12_72
.LBB12_14:                              ;   in Loop: Header=BB12_9 Depth=2
	v_mul_lo_u32 v9, v5, s24
	v_mul_lo_u32 v8, v30, s25
	v_cmp_lt_i32_e32 vcc_lo, v30, v6
	v_mov_b32_e32 v33, 0
	v_mov_b32_e32 v37, 0
	v_ashrrev_i32_e32 v10, 31, v9
	s_delay_alu instid0(VALU_DEP_1) | instskip(SKIP_1) | instid1(VALU_DEP_2)
	v_lshlrev_b64_e32 v[10:11], 1, v[9:10]
	v_ashrrev_i32_e32 v9, 31, v8
	v_add_co_u32 v35, s2, v16, v10
	s_wait_alu 0xf1ff
	s_delay_alu instid0(VALU_DEP_3) | instskip(SKIP_3) | instid1(SALU_CYCLE_1)
	v_add_co_ci_u32_e64 v36, null, v17, v11, s2
	s_and_b32 s2, s4, vcc_lo
	s_wait_alu 0xfffe
	s_and_b32 s41, s1, s2
	s_and_saveexec_b32 s3, s41
	s_cbranch_execz .LBB12_16
; %bb.15:                               ;   in Loop: Header=BB12_9 Depth=2
	v_lshlrev_b64_e32 v[10:11], 1, v[8:9]
	s_delay_alu instid0(VALU_DEP_1) | instskip(SKIP_1) | instid1(VALU_DEP_2)
	v_add_co_u32 v10, s2, v35, v10
	s_wait_alu 0xf1ff
	v_add_co_ci_u32_e64 v11, null, v36, v11, s2
	global_load_u16 v37, v[10:11], off
.LBB12_16:                              ;   in Loop: Header=BB12_9 Depth=2
	s_wait_alu 0xfffe
	s_or_b32 exec_lo, exec_lo, s3
	v_mul_lo_u32 v10, v31, s25
	v_cmp_lt_i32_e64 s2, v31, v6
	s_and_b32 s3, s4, s2
	s_wait_alu 0xfffe
	s_and_b32 s42, s1, s3
	v_ashrrev_i32_e32 v11, 31, v10
	s_wait_alu 0xfffe
	s_and_saveexec_b32 s5, s42
	s_cbranch_execz .LBB12_18
; %bb.17:                               ;   in Loop: Header=BB12_9 Depth=2
	s_delay_alu instid0(VALU_DEP_1) | instskip(NEXT) | instid1(VALU_DEP_1)
	v_lshlrev_b64_e32 v[12:13], 1, v[10:11]
	v_add_co_u32 v12, s3, v35, v12
	s_wait_alu 0xf1ff
	s_delay_alu instid0(VALU_DEP_2)
	v_add_co_ci_u32_e64 v13, null, v36, v13, s3
	global_load_u16 v33, v[12:13], off
.LBB12_18:                              ;   in Loop: Header=BB12_9 Depth=2
	s_wait_alu 0xfffe
	s_or_b32 exec_lo, exec_lo, s5
	v_add_nc_u32_e32 v32, s27, v30
	v_mov_b32_e32 v34, 0
	v_mov_b32_e32 v38, 0
	s_delay_alu instid0(VALU_DEP_3)
	v_mul_lo_u32 v12, v32, s25
	v_cmp_lt_i32_e64 s3, v32, v6
	s_and_b32 s4, s4, s3
	s_wait_alu 0xfffe
	s_and_b32 s43, s1, s4
	v_ashrrev_i32_e32 v13, 31, v12
	s_wait_alu 0xfffe
	s_and_saveexec_b32 s5, s43
	s_cbranch_execz .LBB12_20
; %bb.19:                               ;   in Loop: Header=BB12_9 Depth=2
	s_delay_alu instid0(VALU_DEP_1) | instskip(NEXT) | instid1(VALU_DEP_1)
	v_lshlrev_b64_e32 v[38:39], 1, v[12:13]
	v_add_co_u32 v35, s4, v35, v38
	s_wait_alu 0xf1ff
	s_delay_alu instid0(VALU_DEP_2)
	v_add_co_ci_u32_e64 v36, null, v36, v39, s4
	global_load_u16 v38, v[35:36], off
.LBB12_20:                              ;   in Loop: Header=BB12_9 Depth=2
	s_wait_alu 0xfffe
	s_or_b32 exec_lo, exec_lo, s5
	v_add_nc_u32_e32 v40, s20, v5
	s_delay_alu instid0(VALU_DEP_1) | instskip(SKIP_1) | instid1(VALU_DEP_2)
	v_mul_lo_u32 v35, v40, s24
	v_cmp_lt_i32_e64 s4, v40, v28
	v_ashrrev_i32_e32 v36, 31, v35
	s_delay_alu instid0(VALU_DEP_1) | instskip(NEXT) | instid1(VALU_DEP_1)
	v_lshlrev_b64_e32 v[41:42], 1, v[35:36]
	v_add_co_u32 v36, s5, v16, v41
	s_wait_alu 0xf1ff
	s_delay_alu instid0(VALU_DEP_2) | instskip(SKIP_3) | instid1(SALU_CYCLE_1)
	v_add_co_ci_u32_e64 v41, null, v17, v42, s5
	s_and_b32 s5, s4, vcc_lo
	s_wait_alu 0xfffe
	s_and_b32 s45, s1, s5
	s_and_saveexec_b32 s44, s45
	s_cbranch_execz .LBB12_22
; %bb.21:                               ;   in Loop: Header=BB12_9 Depth=2
	v_lshlrev_b64_e32 v[34:35], 1, v[8:9]
	s_delay_alu instid0(VALU_DEP_1) | instskip(SKIP_1) | instid1(VALU_DEP_2)
	v_add_co_u32 v34, s5, v36, v34
	s_wait_alu 0xf1ff
	v_add_co_ci_u32_e64 v35, null, v41, v35, s5
	global_load_u16 v34, v[34:35], off
.LBB12_22:                              ;   in Loop: Header=BB12_9 Depth=2
	s_or_b32 exec_lo, exec_lo, s44
	v_mov_b32_e32 v35, 0
	v_mov_b32_e32 v39, 0
	s_and_b32 s5, s4, s2
	s_wait_alu 0xfffe
	s_and_b32 s46, s1, s5
	s_delay_alu instid0(SALU_CYCLE_1)
	s_and_saveexec_b32 s44, s46
	s_cbranch_execz .LBB12_24
; %bb.23:                               ;   in Loop: Header=BB12_9 Depth=2
	v_lshlrev_b64_e32 v[42:43], 1, v[10:11]
	s_delay_alu instid0(VALU_DEP_1) | instskip(SKIP_1) | instid1(VALU_DEP_2)
	v_add_co_u32 v42, s5, v36, v42
	s_wait_alu 0xf1ff
	v_add_co_ci_u32_e64 v43, null, v41, v43, s5
	global_load_u16 v39, v[42:43], off
.LBB12_24:                              ;   in Loop: Header=BB12_9 Depth=2
	s_or_b32 exec_lo, exec_lo, s44
	s_and_b32 s4, s4, s3
	s_wait_alu 0xfffe
	s_and_b32 s44, s1, s4
	s_delay_alu instid0(SALU_CYCLE_1)
	s_and_saveexec_b32 s5, s44
	s_cbranch_execz .LBB12_26
; %bb.25:                               ;   in Loop: Header=BB12_9 Depth=2
	v_lshlrev_b64_e32 v[42:43], 1, v[12:13]
	s_delay_alu instid0(VALU_DEP_1) | instskip(SKIP_1) | instid1(VALU_DEP_2)
	v_add_co_u32 v35, s4, v36, v42
	s_wait_alu 0xf1ff
	v_add_co_ci_u32_e64 v36, null, v41, v43, s4
	global_load_u16 v35, v[35:36], off
.LBB12_26:                              ;   in Loop: Header=BB12_9 Depth=2
	s_wait_alu 0xfffe
	s_or_b32 exec_lo, exec_lo, s5
	v_dual_mov_b32 v36, 0 :: v_dual_add_nc_u32 v41, s20, v40
	s_delay_alu instid0(VALU_DEP_1) | instskip(SKIP_1) | instid1(VALU_DEP_2)
	v_mul_lo_u32 v42, v41, s24
	v_cmp_lt_i32_e64 s4, v41, v28
	v_ashrrev_i32_e32 v43, 31, v42
	s_delay_alu instid0(VALU_DEP_1) | instskip(SKIP_1) | instid1(VALU_DEP_2)
	v_lshlrev_b64_e32 v[43:44], 1, v[42:43]
	v_mov_b32_e32 v42, 0
	v_add_co_u32 v43, s5, v16, v43
	s_wait_alu 0xf1ff
	s_delay_alu instid0(VALU_DEP_3) | instskip(SKIP_3) | instid1(SALU_CYCLE_1)
	v_add_co_ci_u32_e64 v44, null, v17, v44, s5
	s_and_b32 s5, s4, vcc_lo
	s_wait_alu 0xfffe
	s_and_b32 s47, s1, s5
	s_and_saveexec_b32 s5, s47
	s_cbranch_execz .LBB12_28
; %bb.27:                               ;   in Loop: Header=BB12_9 Depth=2
	v_lshlrev_b64_e32 v[8:9], 1, v[8:9]
	s_delay_alu instid0(VALU_DEP_1) | instskip(SKIP_1) | instid1(VALU_DEP_2)
	v_add_co_u32 v8, vcc_lo, v43, v8
	s_wait_alu 0xfffd
	v_add_co_ci_u32_e64 v9, null, v44, v9, vcc_lo
	global_load_u16 v42, v[8:9], off
.LBB12_28:                              ;   in Loop: Header=BB12_9 Depth=2
	s_wait_alu 0xfffe
	s_or_b32 exec_lo, exec_lo, s5
	s_and_b32 s2, s4, s2
	s_wait_alu 0xfffe
	s_and_b32 s5, s1, s2
	s_wait_alu 0xfffe
	s_and_saveexec_b32 s2, s5
	s_cbranch_execz .LBB12_30
; %bb.29:                               ;   in Loop: Header=BB12_9 Depth=2
	v_lshlrev_b64_e32 v[8:9], 1, v[10:11]
	s_delay_alu instid0(VALU_DEP_1) | instskip(SKIP_1) | instid1(VALU_DEP_2)
	v_add_co_u32 v8, vcc_lo, v43, v8
	s_wait_alu 0xfffd
	v_add_co_ci_u32_e64 v9, null, v44, v9, vcc_lo
	global_load_u16 v36, v[8:9], off
.LBB12_30:                              ;   in Loop: Header=BB12_9 Depth=2
	s_wait_alu 0xfffe
	s_or_b32 exec_lo, exec_lo, s2
	v_mov_b32_e32 v8, 0
	s_and_b32 s2, s4, s3
	s_wait_alu 0xfffe
	s_and_b32 s3, s1, s2
	s_wait_alu 0xfffe
	s_and_saveexec_b32 s2, s3
	s_cbranch_execz .LBB12_32
; %bb.31:                               ;   in Loop: Header=BB12_9 Depth=2
	v_lshlrev_b64_e32 v[8:9], 1, v[12:13]
	s_delay_alu instid0(VALU_DEP_1) | instskip(SKIP_1) | instid1(VALU_DEP_2)
	v_add_co_u32 v8, vcc_lo, v43, v8
	s_wait_alu 0xfffd
	v_add_co_ci_u32_e64 v9, null, v44, v9, vcc_lo
	global_load_u16 v8, v[8:9], off
.LBB12_32:                              ;   in Loop: Header=BB12_9 Depth=2
	s_wait_alu 0xfffe
	s_or_b32 exec_lo, exec_lo, s2
	v_mul_lo_u32 v9, v5, s11
	s_and_saveexec_b32 s4, s41
	s_cbranch_execz .LBB12_35
; %bb.33:                               ;   in Loop: Header=BB12_9 Depth=2
	ds_load_u16 v10, v18
	s_wait_loadcnt 0x0
	v_lshlrev_b32_e32 v11, 16, v37
	s_delay_alu instid0(VALU_DEP_1) | instskip(SKIP_2) | instid1(VALU_DEP_1)
	v_cmp_u_f32_e64 s2, v11, v11
	s_wait_dscnt 0x0
	v_lshlrev_b32_e32 v10, 16, v10
	v_cmp_gt_f32_e32 vcc_lo, v11, v10
	s_or_b32 s2, s2, vcc_lo
	s_wait_alu 0xfffe
	s_and_b32 exec_lo, exec_lo, s2
	s_cbranch_execz .LBB12_35
; %bb.34:                               ;   in Loop: Header=BB12_9 Depth=2
	v_add_nc_u32_e32 v10, v30, v9
	ds_store_b16 v18, v37
	ds_store_b32 v19, v10
.LBB12_35:                              ;   in Loop: Header=BB12_9 Depth=2
	s_wait_alu 0xfffe
	s_or_b32 exec_lo, exec_lo, s4
	s_and_saveexec_b32 s4, s42
	s_cbranch_execz .LBB12_38
; %bb.36:                               ;   in Loop: Header=BB12_9 Depth=2
	ds_load_u16 v10, v18
	s_wait_loadcnt 0x0
	v_lshlrev_b32_e32 v11, 16, v33
	s_delay_alu instid0(VALU_DEP_1) | instskip(SKIP_2) | instid1(VALU_DEP_1)
	v_cmp_u_f32_e64 s2, v11, v11
	s_wait_dscnt 0x0
	v_lshlrev_b32_e32 v10, 16, v10
	v_cmp_gt_f32_e32 vcc_lo, v11, v10
	s_or_b32 s2, s2, vcc_lo
	s_wait_alu 0xfffe
	s_and_b32 exec_lo, exec_lo, s2
	s_cbranch_execz .LBB12_38
; %bb.37:                               ;   in Loop: Header=BB12_9 Depth=2
	v_add_nc_u32_e32 v10, v31, v9
	ds_store_b16 v18, v33
	ds_store_b32 v19, v10
.LBB12_38:                              ;   in Loop: Header=BB12_9 Depth=2
	s_wait_alu 0xfffe
	s_or_b32 exec_lo, exec_lo, s4
	;; [unrolled: 22-line block ×3, first 2 shown]
	v_mul_lo_u32 v9, v40, s11
	s_and_saveexec_b32 s4, s45
	s_cbranch_execz .LBB12_44
; %bb.42:                               ;   in Loop: Header=BB12_9 Depth=2
	ds_load_u16 v10, v18
	s_wait_loadcnt 0x0
	v_lshlrev_b32_e32 v11, 16, v34
	s_delay_alu instid0(VALU_DEP_1) | instskip(SKIP_2) | instid1(VALU_DEP_1)
	v_cmp_u_f32_e64 s2, v11, v11
	s_wait_dscnt 0x0
	v_lshlrev_b32_e32 v10, 16, v10
	v_cmp_gt_f32_e32 vcc_lo, v11, v10
	s_or_b32 s2, s2, vcc_lo
	s_wait_alu 0xfffe
	s_and_b32 exec_lo, exec_lo, s2
	s_cbranch_execz .LBB12_44
; %bb.43:                               ;   in Loop: Header=BB12_9 Depth=2
	v_add_nc_u32_e32 v10, v30, v9
	ds_store_b16 v18, v34
	ds_store_b32 v19, v10
.LBB12_44:                              ;   in Loop: Header=BB12_9 Depth=2
	s_wait_alu 0xfffe
	s_or_b32 exec_lo, exec_lo, s4
	s_and_saveexec_b32 s4, s46
	s_cbranch_execz .LBB12_47
; %bb.45:                               ;   in Loop: Header=BB12_9 Depth=2
	ds_load_u16 v10, v18
	s_wait_loadcnt 0x0
	v_lshlrev_b32_e32 v11, 16, v39
	s_delay_alu instid0(VALU_DEP_1) | instskip(SKIP_2) | instid1(VALU_DEP_1)
	v_cmp_u_f32_e64 s2, v11, v11
	s_wait_dscnt 0x0
	v_lshlrev_b32_e32 v10, 16, v10
	v_cmp_gt_f32_e32 vcc_lo, v11, v10
	s_or_b32 s2, s2, vcc_lo
	s_wait_alu 0xfffe
	s_and_b32 exec_lo, exec_lo, s2
	s_cbranch_execz .LBB12_47
; %bb.46:                               ;   in Loop: Header=BB12_9 Depth=2
	v_add_nc_u32_e32 v10, v31, v9
	ds_store_b16 v18, v39
	ds_store_b32 v19, v10
.LBB12_47:                              ;   in Loop: Header=BB12_9 Depth=2
	s_wait_alu 0xfffe
	s_or_b32 exec_lo, exec_lo, s4
	;; [unrolled: 22-line block ×3, first 2 shown]
	v_mul_lo_u32 v9, v41, s11
	s_and_saveexec_b32 s4, s47
	s_cbranch_execz .LBB12_53
; %bb.51:                               ;   in Loop: Header=BB12_9 Depth=2
	ds_load_u16 v10, v18
	s_wait_loadcnt 0x0
	v_lshlrev_b32_e32 v11, 16, v42
	s_delay_alu instid0(VALU_DEP_1) | instskip(SKIP_2) | instid1(VALU_DEP_1)
	v_cmp_u_f32_e64 s2, v11, v11
	s_wait_dscnt 0x0
	v_lshlrev_b32_e32 v10, 16, v10
	v_cmp_gt_f32_e32 vcc_lo, v11, v10
	s_or_b32 s2, s2, vcc_lo
	s_wait_alu 0xfffe
	s_and_b32 exec_lo, exec_lo, s2
	s_cbranch_execz .LBB12_53
; %bb.52:                               ;   in Loop: Header=BB12_9 Depth=2
	v_add_nc_u32_e32 v10, v30, v9
	ds_store_b16 v18, v42
	ds_store_b32 v19, v10
.LBB12_53:                              ;   in Loop: Header=BB12_9 Depth=2
	s_wait_alu 0xfffe
	s_or_b32 exec_lo, exec_lo, s4
	s_and_saveexec_b32 s4, s5
	s_cbranch_execz .LBB12_56
; %bb.54:                               ;   in Loop: Header=BB12_9 Depth=2
	ds_load_u16 v10, v18
	s_wait_loadcnt 0x0
	v_lshlrev_b32_e32 v11, 16, v36
	s_delay_alu instid0(VALU_DEP_1) | instskip(SKIP_2) | instid1(VALU_DEP_1)
	v_cmp_u_f32_e64 s2, v11, v11
	s_wait_dscnt 0x0
	v_lshlrev_b32_e32 v10, 16, v10
	v_cmp_gt_f32_e32 vcc_lo, v11, v10
	s_or_b32 s2, s2, vcc_lo
	s_wait_alu 0xfffe
	s_and_b32 exec_lo, exec_lo, s2
	s_cbranch_execz .LBB12_56
; %bb.55:                               ;   in Loop: Header=BB12_9 Depth=2
	v_add_nc_u32_e32 v10, v31, v9
	ds_store_b16 v18, v36
	ds_store_b32 v19, v10
.LBB12_56:                              ;   in Loop: Header=BB12_9 Depth=2
	s_wait_alu 0xfffe
	s_or_b32 exec_lo, exec_lo, s4
	;; [unrolled: 22-line block ×3, first 2 shown]
	s_branch .LBB12_13
.LBB12_60:                              ;   in Loop: Header=BB12_9 Depth=2
	s_mov_b32 s4, exec_lo
	v_cmpx_lt_i32_e64 v5, v28
	s_cbranch_execz .LBB12_71
; %bb.61:                               ;   in Loop: Header=BB12_9 Depth=2
	v_mov_b32_e32 v10, v5
	s_mov_b32 s5, 0
	v_cmp_lt_i32_e32 vcc_lo, v30, v6
	s_branch .LBB12_63
.LBB12_62:                              ;   in Loop: Header=BB12_63 Depth=3
	s_or_b32 exec_lo, exec_lo, s41
	v_add_nc_u32_e32 v10, s20, v10
	s_delay_alu instid0(VALU_DEP_1)
	v_cmp_ge_i32_e64 s2, v10, v28
	s_wait_alu 0xfffe
	s_or_b32 s5, s2, s5
	s_wait_alu 0xfffe
	s_and_not1_b32 exec_lo, exec_lo, s5
	s_cbranch_execz .LBB12_71
.LBB12_63:                              ;   Parent Loop BB12_6 Depth=1
                                        ;     Parent Loop BB12_9 Depth=2
                                        ; =>    This Loop Header: Depth=3
                                        ;         Child Loop BB12_66 Depth 4
                                        ;           Child Loop BB12_69 Depth 5
	s_and_saveexec_b32 s41, vcc_lo
	s_cbranch_execz .LBB12_62
; %bb.64:                               ;   in Loop: Header=BB12_63 Depth=3
	s_wait_loadcnt 0x0
	v_mul_lo_u32 v8, v10, s24
	v_mul_lo_u32 v11, v10, s11
	v_mov_b32_e32 v31, v30
	s_mov_b32 s42, 0
	s_delay_alu instid0(VALU_DEP_3) | instskip(NEXT) | instid1(VALU_DEP_1)
	v_ashrrev_i32_e32 v9, 31, v8
	v_lshlrev_b64_e32 v[8:9], 1, v[8:9]
	s_delay_alu instid0(VALU_DEP_1) | instskip(SKIP_1) | instid1(VALU_DEP_2)
	v_add_co_u32 v12, s2, s14, v8
	s_wait_alu 0xf1ff
	v_add_co_ci_u32_e64 v13, null, s15, v9, s2
	s_branch .LBB12_66
.LBB12_65:                              ;   in Loop: Header=BB12_66 Depth=4
	s_wait_alu 0xfffe
	s_or_b32 exec_lo, exec_lo, s43
	v_add_nc_u32_e32 v31, s21, v31
	s_delay_alu instid0(VALU_DEP_1)
	v_cmp_ge_i32_e64 s2, v31, v6
	s_or_b32 s42, s2, s42
	s_wait_alu 0xfffe
	s_and_not1_b32 exec_lo, exec_lo, s42
	s_cbranch_execz .LBB12_62
.LBB12_66:                              ;   Parent Loop BB12_6 Depth=1
                                        ;     Parent Loop BB12_9 Depth=2
                                        ;       Parent Loop BB12_63 Depth=3
                                        ; =>      This Loop Header: Depth=4
                                        ;           Child Loop BB12_69 Depth 5
	s_and_saveexec_b32 s43, s1
	s_cbranch_execz .LBB12_65
; %bb.67:                               ;   in Loop: Header=BB12_66 Depth=4
	v_mul_lo_u32 v8, v31, s25
	v_dual_mov_b32 v33, v21 :: v_dual_add_nc_u32 v32, v31, v11
	v_dual_mov_b32 v34, v20 :: v_dual_mov_b32 v37, v1
	s_mov_b32 s44, 0
	s_delay_alu instid0(VALU_DEP_3) | instskip(NEXT) | instid1(VALU_DEP_1)
	v_ashrrev_i32_e32 v9, 31, v8
	v_lshlrev_b64_e32 v[35:36], 1, v[8:9]
	v_mov_b32_e32 v8, v4
	s_delay_alu instid0(VALU_DEP_2) | instskip(SKIP_1) | instid1(VALU_DEP_3)
	v_add_co_u32 v35, s2, v12, v35
	s_wait_alu 0xf1ff
	v_add_co_ci_u32_e64 v36, null, v13, v36, s2
	s_branch .LBB12_69
.LBB12_68:                              ;   in Loop: Header=BB12_69 Depth=5
	s_wait_alu 0xfffe
	s_or_b32 exec_lo, exec_lo, s2
	v_add_nc_u32_e32 v37, s12, v37
	v_add_nc_u32_e32 v8, s35, v8
	;; [unrolled: 1-line block ×4, first 2 shown]
	s_delay_alu instid0(VALU_DEP_4) | instskip(SKIP_1) | instid1(SALU_CYCLE_1)
	v_cmp_le_i32_e64 s2, s9, v37
	s_or_b32 s44, s2, s44
	s_and_not1_b32 exec_lo, exec_lo, s44
	s_cbranch_execz .LBB12_65
.LBB12_69:                              ;   Parent Loop BB12_6 Depth=1
                                        ;     Parent Loop BB12_9 Depth=2
                                        ;       Parent Loop BB12_63 Depth=3
                                        ;         Parent Loop BB12_66 Depth=4
                                        ; =>        This Inner Loop Header: Depth=5
	v_ashrrev_i32_e32 v9, 31, v8
	s_delay_alu instid0(VALU_DEP_1) | instskip(NEXT) | instid1(VALU_DEP_1)
	v_lshlrev_b64_e32 v[38:39], 1, v[8:9]
	v_add_co_u32 v38, s2, v35, v38
	s_wait_alu 0xf1ff
	s_delay_alu instid0(VALU_DEP_2)
	v_add_co_ci_u32_e64 v39, null, v36, v39, s2
	global_load_u16 v9, v[38:39], off
	ds_load_u16 v38, v34
	s_wait_dscnt 0x0
	v_lshlrev_b32_e32 v38, 16, v38
	s_wait_loadcnt 0x0
	v_lshlrev_b32_e32 v39, 16, v9
	s_delay_alu instid0(VALU_DEP_1)
	v_cmp_gt_f32_e64 s2, v39, v38
	v_cmp_u_f32_e64 s3, v39, v39
	s_or_b32 s3, s3, s2
	s_wait_alu 0xfffe
	s_and_saveexec_b32 s2, s3
	s_cbranch_execz .LBB12_68
; %bb.70:                               ;   in Loop: Header=BB12_69 Depth=5
	ds_store_b16 v34, v9
	ds_store_b32 v33, v32
	s_branch .LBB12_68
.LBB12_71:                              ;   in Loop: Header=BB12_9 Depth=2
	s_wait_alu 0xfffe
	s_or_b32 exec_lo, exec_lo, s4
	s_and_saveexec_b32 s3, s1
	s_cbranch_execz .LBB12_8
.LBB12_72:                              ;   in Loop: Header=BB12_9 Depth=2
	s_wait_loadcnt 0x0
	v_ashrrev_i32_e32 v8, 31, v7
	v_dual_mov_b32 v6, v21 :: v_dual_mov_b32 v13, v1
	s_mov_b32 s4, 0
	s_delay_alu instid0(VALU_DEP_2) | instskip(SKIP_1) | instid1(VALU_DEP_2)
	v_lshlrev_b64_e32 v[9:10], 1, v[7:8]
	v_lshlrev_b64_e32 v[11:12], 3, v[7:8]
	v_add_co_u32 v8, vcc_lo, v22, v9
	s_wait_alu 0xfffd
	s_delay_alu instid0(VALU_DEP_3) | instskip(NEXT) | instid1(VALU_DEP_3)
	v_add_co_ci_u32_e64 v9, null, v23, v10, vcc_lo
	v_add_co_u32 v10, vcc_lo, v2, v11
	s_wait_alu 0xfffd
	v_add_co_ci_u32_e64 v11, null, v25, v12, vcc_lo
	v_mov_b32_e32 v12, v20
.LBB12_73:                              ;   Parent Loop BB12_6 Depth=1
                                        ;     Parent Loop BB12_9 Depth=2
                                        ; =>    This Inner Loop Header: Depth=3
	ds_load_b32 v30, v6
	ds_load_u16 v31, v12
	v_add_nc_u32_e32 v13, s12, v13
	ds_store_b16 v12, v26
	ds_store_b32 v6, v27
	v_add_nc_u32_e32 v12, s36, v12
	v_add_nc_u32_e32 v6, s37, v6
	v_cmp_le_i32_e32 vcc_lo, s9, v13
	s_wait_alu 0xfffe
	s_or_b32 s4, vcc_lo, s4
	s_wait_dscnt 0x2
	global_store_b16 v[8:9], v31, off
	v_ashrrev_i32_e32 v31, 31, v30
	v_add_co_u32 v8, s2, v8, s6
	s_wait_alu 0xf1ff
	v_add_co_ci_u32_e64 v9, null, s7, v9, s2
	global_store_b64 v[10:11], v[30:31], off
	v_add_co_u32 v10, s2, v10, s22
	s_wait_alu 0xf1ff
	v_add_co_ci_u32_e64 v11, null, s23, v11, s2
	s_wait_alu 0xfffe
	s_and_not1_b32 exec_lo, exec_lo, s4
	s_cbranch_execnz .LBB12_73
	s_branch .LBB12_8
.LBB12_74:
	s_endpgm
	.section	.rodata,"a",@progbits
	.p2align	6, 0x0
	.amdhsa_kernel _ZN2at6native12_GLOBAL__N_121max_pool_forward_nhwcIN3c108BFloat16EiEEvPKT_iT0_S8_S8_S8_S8_iiiiiiiiS8_S8_S8_S8_iiPS5_Pl
		.amdhsa_group_segment_fixed_size 0
		.amdhsa_private_segment_fixed_size 0
		.amdhsa_kernarg_size 360
		.amdhsa_user_sgpr_count 2
		.amdhsa_user_sgpr_dispatch_ptr 0
		.amdhsa_user_sgpr_queue_ptr 0
		.amdhsa_user_sgpr_kernarg_segment_ptr 1
		.amdhsa_user_sgpr_dispatch_id 0
		.amdhsa_user_sgpr_private_segment_size 0
		.amdhsa_wavefront_size32 1
		.amdhsa_uses_dynamic_stack 0
		.amdhsa_enable_private_segment 0
		.amdhsa_system_sgpr_workgroup_id_x 1
		.amdhsa_system_sgpr_workgroup_id_y 1
		.amdhsa_system_sgpr_workgroup_id_z 1
		.amdhsa_system_sgpr_workgroup_info 0
		.amdhsa_system_vgpr_workitem_id 2
		.amdhsa_next_free_vgpr 45
		.amdhsa_next_free_sgpr 48
		.amdhsa_reserve_vcc 1
		.amdhsa_float_round_mode_32 0
		.amdhsa_float_round_mode_16_64 0
		.amdhsa_float_denorm_mode_32 3
		.amdhsa_float_denorm_mode_16_64 3
		.amdhsa_fp16_overflow 0
		.amdhsa_workgroup_processor_mode 1
		.amdhsa_memory_ordered 1
		.amdhsa_forward_progress 1
		.amdhsa_inst_pref_size 32
		.amdhsa_round_robin_scheduling 0
		.amdhsa_exception_fp_ieee_invalid_op 0
		.amdhsa_exception_fp_denorm_src 0
		.amdhsa_exception_fp_ieee_div_zero 0
		.amdhsa_exception_fp_ieee_overflow 0
		.amdhsa_exception_fp_ieee_underflow 0
		.amdhsa_exception_fp_ieee_inexact 0
		.amdhsa_exception_int_div_zero 0
	.end_amdhsa_kernel
	.section	.text._ZN2at6native12_GLOBAL__N_121max_pool_forward_nhwcIN3c108BFloat16EiEEvPKT_iT0_S8_S8_S8_S8_iiiiiiiiS8_S8_S8_S8_iiPS5_Pl,"axG",@progbits,_ZN2at6native12_GLOBAL__N_121max_pool_forward_nhwcIN3c108BFloat16EiEEvPKT_iT0_S8_S8_S8_S8_iiiiiiiiS8_S8_S8_S8_iiPS5_Pl,comdat
.Lfunc_end12:
	.size	_ZN2at6native12_GLOBAL__N_121max_pool_forward_nhwcIN3c108BFloat16EiEEvPKT_iT0_S8_S8_S8_S8_iiiiiiiiS8_S8_S8_S8_iiPS5_Pl, .Lfunc_end12-_ZN2at6native12_GLOBAL__N_121max_pool_forward_nhwcIN3c108BFloat16EiEEvPKT_iT0_S8_S8_S8_S8_iiiiiiiiS8_S8_S8_S8_iiPS5_Pl
                                        ; -- End function
	.set _ZN2at6native12_GLOBAL__N_121max_pool_forward_nhwcIN3c108BFloat16EiEEvPKT_iT0_S8_S8_S8_S8_iiiiiiiiS8_S8_S8_S8_iiPS5_Pl.num_vgpr, 45
	.set _ZN2at6native12_GLOBAL__N_121max_pool_forward_nhwcIN3c108BFloat16EiEEvPKT_iT0_S8_S8_S8_S8_iiiiiiiiS8_S8_S8_S8_iiPS5_Pl.num_agpr, 0
	.set _ZN2at6native12_GLOBAL__N_121max_pool_forward_nhwcIN3c108BFloat16EiEEvPKT_iT0_S8_S8_S8_S8_iiiiiiiiS8_S8_S8_S8_iiPS5_Pl.numbered_sgpr, 48
	.set _ZN2at6native12_GLOBAL__N_121max_pool_forward_nhwcIN3c108BFloat16EiEEvPKT_iT0_S8_S8_S8_S8_iiiiiiiiS8_S8_S8_S8_iiPS5_Pl.num_named_barrier, 0
	.set _ZN2at6native12_GLOBAL__N_121max_pool_forward_nhwcIN3c108BFloat16EiEEvPKT_iT0_S8_S8_S8_S8_iiiiiiiiS8_S8_S8_S8_iiPS5_Pl.private_seg_size, 0
	.set _ZN2at6native12_GLOBAL__N_121max_pool_forward_nhwcIN3c108BFloat16EiEEvPKT_iT0_S8_S8_S8_S8_iiiiiiiiS8_S8_S8_S8_iiPS5_Pl.uses_vcc, 1
	.set _ZN2at6native12_GLOBAL__N_121max_pool_forward_nhwcIN3c108BFloat16EiEEvPKT_iT0_S8_S8_S8_S8_iiiiiiiiS8_S8_S8_S8_iiPS5_Pl.uses_flat_scratch, 0
	.set _ZN2at6native12_GLOBAL__N_121max_pool_forward_nhwcIN3c108BFloat16EiEEvPKT_iT0_S8_S8_S8_S8_iiiiiiiiS8_S8_S8_S8_iiPS5_Pl.has_dyn_sized_stack, 0
	.set _ZN2at6native12_GLOBAL__N_121max_pool_forward_nhwcIN3c108BFloat16EiEEvPKT_iT0_S8_S8_S8_S8_iiiiiiiiS8_S8_S8_S8_iiPS5_Pl.has_recursion, 0
	.set _ZN2at6native12_GLOBAL__N_121max_pool_forward_nhwcIN3c108BFloat16EiEEvPKT_iT0_S8_S8_S8_S8_iiiiiiiiS8_S8_S8_S8_iiPS5_Pl.has_indirect_call, 0
	.section	.AMDGPU.csdata,"",@progbits
; Kernel info:
; codeLenInByte = 4052
; TotalNumSgprs: 50
; NumVgprs: 45
; ScratchSize: 0
; MemoryBound: 0
; FloatMode: 240
; IeeeMode: 1
; LDSByteSize: 0 bytes/workgroup (compile time only)
; SGPRBlocks: 0
; VGPRBlocks: 5
; NumSGPRsForWavesPerEU: 50
; NumVGPRsForWavesPerEU: 45
; Occupancy: 16
; WaveLimiterHint : 1
; COMPUTE_PGM_RSRC2:SCRATCH_EN: 0
; COMPUTE_PGM_RSRC2:USER_SGPR: 2
; COMPUTE_PGM_RSRC2:TRAP_HANDLER: 0
; COMPUTE_PGM_RSRC2:TGID_X_EN: 1
; COMPUTE_PGM_RSRC2:TGID_Y_EN: 1
; COMPUTE_PGM_RSRC2:TGID_Z_EN: 1
; COMPUTE_PGM_RSRC2:TIDIG_COMP_CNT: 2
	.section	.text._ZN2at6native12_GLOBAL__N_121max_pool_forward_nhwcIN3c108BFloat16ElEEvPKT_iT0_S8_S8_S8_S8_iiiiiiiiS8_S8_S8_S8_iiPS5_Pl,"axG",@progbits,_ZN2at6native12_GLOBAL__N_121max_pool_forward_nhwcIN3c108BFloat16ElEEvPKT_iT0_S8_S8_S8_S8_iiiiiiiiS8_S8_S8_S8_iiPS5_Pl,comdat
	.globl	_ZN2at6native12_GLOBAL__N_121max_pool_forward_nhwcIN3c108BFloat16ElEEvPKT_iT0_S8_S8_S8_S8_iiiiiiiiS8_S8_S8_S8_iiPS5_Pl ; -- Begin function _ZN2at6native12_GLOBAL__N_121max_pool_forward_nhwcIN3c108BFloat16ElEEvPKT_iT0_S8_S8_S8_S8_iiiiiiiiS8_S8_S8_S8_iiPS5_Pl
	.p2align	8
	.type	_ZN2at6native12_GLOBAL__N_121max_pool_forward_nhwcIN3c108BFloat16ElEEvPKT_iT0_S8_S8_S8_S8_iiiiiiiiS8_S8_S8_S8_iiPS5_Pl,@function
_ZN2at6native12_GLOBAL__N_121max_pool_forward_nhwcIN3c108BFloat16ElEEvPKT_iT0_S8_S8_S8_S8_iiiiiiiiS8_S8_S8_S8_iiPS5_Pl: ; @_ZN2at6native12_GLOBAL__N_121max_pool_forward_nhwcIN3c108BFloat16ElEEvPKT_iT0_S8_S8_S8_S8_iiiiiiiiS8_S8_S8_S8_iiPS5_Pl
; %bb.0:
	s_clause 0x1
	s_load_b128 s[4:7], s[0:1], 0x94
	s_load_b64 s[44:45], s[0:1], 0x78
	v_bfe_u32 v2, v0, 10, 10
	v_bfe_u32 v1, v0, 20, 10
	v_and_b32_e32 v6, 0x3ff, v0
	s_wait_kmcnt 0x0
	s_lshr_b32 s33, s6, 16
	s_and_b32 s46, s6, 0xffff
	v_mad_u32_u24 v7, v1, s33, v2
	s_mul_i32 s2, s45, s46
	s_and_b32 s52, s7, 0xffff
	s_mul_i32 s3, s2, s33
	s_mov_b32 s6, exec_lo
	v_mad_co_u64_u32 v[3:4], null, v7, s46, v[6:7]
	s_mul_i32 s3, s3, s52
	s_delay_alu instid0(SALU_CYCLE_1)
	v_cmpx_gt_u32_e64 s3, v3
	s_cbranch_execz .LBB13_3
; %bb.1:
	v_dual_mov_b32 v9, 0xffffff80 :: v_dual_lshlrev_b32 v0, 1, v3
	v_mov_b32_e32 v4, 0
	s_lshl_b32 s8, s3, 3
	s_mul_i32 s7, s33, s46
	s_delay_alu instid0(VALU_DEP_2)
	v_add3_u32 v0, 0, s8, v0
	v_lshl_add_u32 v8, v3, 3, 0
	v_mov_b32_e32 v5, v4
	s_mul_i32 s7, s7, s52
	s_mov_b32 s8, 0
	s_lshl_b32 s9, s7, 1
	s_lshl_b32 s10, s7, 3
.LBB13_2:                               ; =>This Inner Loop Header: Depth=1
	v_add_nc_u32_e32 v3, s7, v3
	ds_store_b16 v0, v9
	ds_store_b64 v8, v[4:5]
	s_wait_alu 0xfffe
	v_add_nc_u32_e32 v0, s9, v0
	v_add_nc_u32_e32 v8, s10, v8
	v_cmp_le_u32_e32 vcc_lo, s3, v3
	s_or_b32 s8, vcc_lo, s8
	s_wait_alu 0xfffe
	s_and_not1_b32 exec_lo, exec_lo, s8
	s_cbranch_execnz .LBB13_2
.LBB13_3:
	s_or_b32 exec_lo, exec_lo, s6
	s_cvt_f32_u32 s6, s5
	s_load_b256 s[12:19], s[0:1], 0x10
	s_sub_co_i32 s7, 0, s5
	s_wait_dscnt 0x0
	v_rcp_iflag_f32_e32 v0, s6
	s_barrier_signal -1
	s_barrier_wait -1
	global_inv scope:SCOPE_SE
	v_readfirstlane_b32 s6, v0
	s_mul_f32 s6, s6, 0x4f7ffffe
	s_wait_kmcnt 0x0
	s_add_co_i32 s8, s18, s5
	s_wait_alu 0xfffe
	s_add_co_i32 s8, s8, -1
	s_cvt_u32_f32 s6, s6
	s_wait_alu 0xfffe
	s_delay_alu instid0(SALU_CYCLE_2)
	s_mul_i32 s7, s7, s6
	s_wait_alu 0xfffe
	s_mul_hi_u32 s7, s6, s7
	s_wait_alu 0xfffe
	s_add_co_i32 s7, s6, s7
	s_load_b32 s6, s[0:1], 0x8
	s_mul_hi_u32 s7, s8, s7
	s_wait_alu 0xfffe
	s_mul_i32 s9, s7, s5
	s_wait_alu 0xfffe
	s_sub_co_i32 s8, s8, s9
	s_add_co_i32 s9, s7, 1
	s_wait_alu 0xfffe
	s_sub_co_i32 s10, s8, s5
	s_cmp_ge_u32 s8, s5
	s_cselect_b32 s7, s9, s7
	s_wait_alu 0xfffe
	s_cselect_b32 s8, s10, s8
	s_add_co_i32 s9, s7, 1
	s_wait_alu 0xfffe
	s_cmp_ge_u32 s8, s5
	s_cvt_f32_u32 s8, s4
	s_cselect_b32 s5, s9, s7
	s_lshr_b32 s7, ttmp7, 16
	s_mov_b32 s9, 0
	s_wait_alu 0xfffe
	v_mad_co_u64_u32 v[0:1], null, s5, s7, v[1:2]
	s_wait_kmcnt 0x0
	s_cvt_f32_u32 s7, s6
	v_rcp_iflag_f32_e32 v3, s8
	s_mov_b32 s8, exec_lo
	s_wait_alu 0xfffe
	v_rcp_iflag_f32_e32 v1, s7
	s_delay_alu instid0(VALU_DEP_1) | instskip(NEXT) | instid1(TRANS32_DEP_2)
	v_add_nc_u32_e32 v4, s5, v0
	v_readfirstlane_b32 s5, v3
	s_delay_alu instid0(VALU_DEP_2) | instskip(NEXT) | instid1(TRANS32_DEP_1)
	v_min_i32_e32 v34, s18, v4
	v_readfirstlane_b32 s7, v1
	s_delay_alu instid0(VALU_DEP_2)
	v_cmpx_lt_i32_e64 v0, v34
	s_cbranch_execz .LBB13_78
; %bb.4:
	s_load_b64 s[10:11], s[0:1], 0x30
	s_mul_f32 s7, s7, 0x4f7ffffe
	s_mul_f32 s5, s5, 0x4f7ffffe
	s_sub_co_i32 s28, 0, s6
	s_sub_co_i32 s30, 0, s4
	s_wait_alu 0xfffe
	s_cvt_u32_f32 s7, s7
	s_cvt_u32_f32 s5, s5
	s_mov_b32 s8, ttmp9
	s_mov_b32 s29, s9
	s_wait_alu 0xfffe
	s_mul_i32 s28, s28, s7
	s_mul_i32 s30, s30, s5
	s_mul_hi_u32 s28, s7, s28
	s_load_b256 s[20:27], s[0:1], 0x58
	s_add_co_i32 s28, s7, s28
	s_mul_hi_u32 s7, s5, s30
	s_mul_u64 s[28:29], s[8:9], s[28:29]
	s_load_b64 s[30:31], s[0:1], 0x0
	s_add_co_i32 s28, s5, s7
	s_mul_i32 s7, s29, s6
	s_lshl_b32 s3, s3, 3
	s_wait_kmcnt 0x0
	s_add_co_i32 s5, s10, s4
	s_and_b32 s34, ttmp7, 0xffff
	s_wait_alu 0xfffe
	s_add_co_i32 s8, s5, -1
	s_sub_co_i32 s5, ttmp9, s7
	s_add_co_i32 s3, s3, 0
	s_add_co_i32 s7, s29, 1
	s_wait_alu 0xfffe
	s_sub_co_i32 s35, s5, s6
	s_cmp_ge_u32 s5, s6
	v_mul_lo_u32 v4, s2, v7
	s_cselect_b32 s7, s7, s29
	s_cselect_b32 s5, s35, s5
	s_wait_alu 0xfffe
	s_add_co_i32 s29, s7, 1
	s_cmp_ge_u32 s5, s6
	v_lshlrev_b32_e32 v12, 1, v7
	s_cselect_b32 s5, s29, s7
	s_mov_b32 s29, s9
	s_wait_alu 0xfffe
	s_mul_i32 s35, s5, s6
	s_mul_u64 s[6:7], s[8:9], s[28:29]
	s_sub_co_i32 s48, ttmp9, s35
	s_wait_alu 0xfffe
	s_mul_i32 s6, s7, s4
	s_ashr_i32 s49, s48, 31
	s_wait_alu 0xfffe
	s_sub_co_i32 s6, s8, s6
	s_mul_u64 s[20:21], s[20:21], s[48:49]
	s_add_co_i32 s8, s7, 1
	s_lshl_b64 s[20:21], s[20:21], 1
	s_wait_alu 0xfffe
	s_sub_co_i32 s28, s6, s4
	s_cmp_ge_u32 s6, s4
	v_lshlrev_b32_e32 v10, 1, v4
	s_cselect_b32 s7, s8, s7
	s_cselect_b32 s6, s28, s6
	s_wait_alu 0xfffe
	s_add_co_i32 s8, s7, 1
	s_cmp_ge_u32 s6, s4
	v_lshlrev_b32_e32 v11, 3, v4
	s_wait_alu 0xfffe
	s_cselect_b32 s2, s8, s7
	s_mul_i32 s8, s44, s46
	s_wait_alu 0xfffe
	v_mad_co_u64_u32 v[1:2], null, s2, s34, v[2:3]
	v_mad_co_u64_u32 v[2:3], null, s5, s46, v[6:7]
	s_load_b256 s[36:43], s[0:1], 0x38
	s_add_nc_u64 s[20:21], s[30:31], s[20:21]
	v_mul_lo_u32 v7, s45, v7
	s_load_b128 s[4:7], s[0:1], 0x80
	v_add_nc_u32_e32 v4, s2, v1
	v_cmp_le_i64_e64 s2, s[12:13], s[8:9]
	v_ashrrev_i32_e32 v3, 31, v2
	v_mul_lo_u32 v9, s23, v2
	s_mul_i32 s8, s33, s52
	v_min_i32_e32 v35, s10, v4
	v_mad_co_u64_u32 v[4:5], null, s22, v2, 0
	v_mul_lo_u32 v8, s22, v3
	v_mul_lo_u32 v7, v7, s46
	s_mov_b32 s47, s9
	s_mov_b32 s50, s44
	s_mul_u64 s[18:19], s[10:11], s[18:19]
	s_mov_b32 s62, 0
	s_wait_alu 0xfffe
	s_mul_u64 s[48:49], s[18:19], s[48:49]
	v_mov_b32_e32 v42, 0xffffff80
	v_add3_u32 v5, v5, v8, v9
	v_lshlrev_b32_e32 v7, 3, v7
	s_wait_kmcnt 0x0
	s_add_co_i32 s0, s36, -1
	s_add_co_i32 s1, s37, -1
	s_mul_i32 s0, s42, s0
	v_lshlrev_b64_e32 v[8:9], 1, v[4:5]
	s_mul_i32 s1, s43, s1
	s_add_co_i32 s54, s0, 1
	s_add_co_i32 s57, s1, 1
	s_max_i32 s1, s36, s37
	s_ashr_i32 s55, s40, 31
	v_add_co_u32 v36, vcc_lo, s20, v8
	v_lshl_add_u32 v8, s8, 3, v12
	v_add_co_ci_u32_e64 v37, null, s21, v9, vcc_lo
	v_lshlrev_b32_e32 v9, 1, v6
	v_lshlrev_b32_e32 v6, 3, v6
	s_delay_alu instid0(VALU_DEP_4)
	v_mul_lo_u32 v8, s45, v8
	s_ashr_i32 s56, s54, 31
	s_ashr_i32 s29, s41, 31
	v_add3_u32 v38, s3, v10, v9
	v_add3_u32 v41, v7, v6, 0
	v_mov_b32_e32 v10, 0
	v_add3_u32 v39, 0, v11, v6
	v_lshlrev_b64_e32 v[6:7], 3, v[2:3]
	v_mul_lo_u32 v8, v8, s46
	s_ashr_i32 s58, s57, 31
	s_ashr_i32 s31, s42, 31
	;; [unrolled: 1-line block ×3, first 2 shown]
	s_mov_b32 s30, s42
	s_cmp_lt_i32 s1, 4
	v_cmp_gt_u64_e64 s8, s[30:31], 1
	v_add_co_u32 v6, vcc_lo, s6, v6
	v_add3_u32 v40, v8, v9, 0
	v_lshlrev_b64_e32 v[8:9], 1, v[2:3]
	s_cselect_b32 s1, -1, 0
	s_wait_alu 0xfffd
	v_add_co_ci_u32_e64 v7, null, s7, v7, vcc_lo
	s_mov_b32 s28, s41
	s_mov_b32 s34, s43
	v_add_co_u32 v8, vcc_lo, s4, v8
	s_and_b32 s59, s1, s2
	v_cmp_le_i64_e64 s1, s[12:13], v[2:3]
	v_cmp_gt_i64_e64 s2, s[12:13], v[2:3]
	s_ashr_i32 s51, s44, 31
	v_cmp_lt_i32_e64 s0, v1, v35
	s_wait_alu 0xfffd
	v_add_co_ci_u32_e64 v9, null, s5, v9, vcc_lo
	s_mul_u64 s[36:37], s[46:47], s[50:51]
	s_wait_alu 0xfffe
	s_add_nc_u64 s[44:45], s[28:29], s[34:35]
	s_mul_u64 s[50:51], s[22:23], s[50:51]
	s_and_b32 s8, s8, exec_lo
	s_mov_b32 s53, s40
	s_cselect_b32 s41, s31, 0
	s_cselect_b32 s40, s42, 1
	s_wait_alu 0xfffe
	s_sub_nc_u64 s[22:23], 0, s[44:45]
	s_mul_u64 s[44:45], s[50:51], s[46:47]
	s_lshl_b32 s60, s46, 1
	s_lshl_b32 s61, s46, 3
	s_lshl_b64 s[18:19], s[48:49], 3
	s_lshl_b64 s[46:47], s[36:37], 3
	;; [unrolled: 1-line block ×4, first 2 shown]
	s_branch .LBB13_6
.LBB13_5:                               ;   in Loop: Header=BB13_6 Depth=1
	s_or_b32 exec_lo, exec_lo, s63
	v_add_nc_u32_e32 v0, s52, v0
	s_delay_alu instid0(VALU_DEP_1) | instskip(SKIP_1) | instid1(SALU_CYCLE_1)
	v_cmp_ge_i32_e32 vcc_lo, v0, v34
	s_or_b32 s62, vcc_lo, s62
	s_and_not1_b32 exec_lo, exec_lo, s62
	s_cbranch_execz .LBB13_78
.LBB13_6:                               ; =>This Loop Header: Depth=1
                                        ;     Child Loop BB13_9 Depth 2
                                        ;       Child Loop BB13_14 Depth 3
                                        ;       Child Loop BB13_67 Depth 3
                                        ;         Child Loop BB13_70 Depth 4
                                        ;           Child Loop BB13_73 Depth 5
                                        ;       Child Loop BB13_77 Depth 3
	s_and_saveexec_b32 s63, s0
	s_cbranch_execz .LBB13_5
; %bb.7:                                ;   in Loop: Header=BB13_6 Depth=1
	v_mad_co_i64_i32 v[12:13], null, v0, s38, 0
	v_ashrrev_i32_e32 v11, 31, v0
	v_mul_lo_u32 v18, s11, v0
	v_mad_co_u64_u32 v[14:15], null, s10, v0, 0
	s_mov_b32 s64, 0
	v_mul_lo_u32 v11, s10, v11
	v_sub_co_u32 v12, vcc_lo, v12, s53
	s_wait_alu 0xfffd
	v_subrev_co_ci_u32_e64 v13, null, s55, v13, vcc_lo
	v_mov_b32_e32 v43, v1
	s_delay_alu instid0(VALU_DEP_3) | instskip(SKIP_1) | instid1(VALU_DEP_3)
	v_add_co_u32 v16, vcc_lo, v12, s54
	s_wait_alu 0xfffd
	v_add_co_ci_u32_e64 v17, null, s56, v13, vcc_lo
	v_add3_u32 v15, v15, v11, v18
	s_delay_alu instid0(VALU_DEP_2)
	v_cmp_gt_i64_e32 vcc_lo, s[14:15], v[16:17]
	s_wait_alu 0xfffd
	v_cndmask_b32_e32 v17, s15, v17, vcc_lo
	v_cndmask_b32_e32 v16, s14, v16, vcc_lo
	s_branch .LBB13_9
.LBB13_8:                               ;   in Loop: Header=BB13_9 Depth=2
	s_wait_alu 0xfffe
	s_or_b32 exec_lo, exec_lo, s4
	v_add_nc_u32_e32 v43, s33, v43
	s_delay_alu instid0(VALU_DEP_1) | instskip(SKIP_1) | instid1(SALU_CYCLE_1)
	v_cmp_ge_i32_e32 vcc_lo, v43, v35
	s_or_b32 s64, vcc_lo, s64
	s_and_not1_b32 exec_lo, exec_lo, s64
	s_cbranch_execz .LBB13_5
.LBB13_9:                               ;   Parent Loop BB13_6 Depth=1
                                        ; =>  This Loop Header: Depth=2
                                        ;       Child Loop BB13_14 Depth 3
                                        ;       Child Loop BB13_67 Depth 3
                                        ;         Child Loop BB13_70 Depth 4
                                        ;           Child Loop BB13_73 Depth 5
                                        ;       Child Loop BB13_77 Depth 3
	v_cmp_lt_i64_e32 vcc_lo, 0, v[12:13]
	v_lshrrev_b32_e32 v24, 31, v13
	s_mov_b32 s3, exec_lo
	s_wait_alu 0xfffd
	v_dual_cndmask_b32 v11, 0, v13 :: v_dual_cndmask_b32 v18, 0, v12
	s_delay_alu instid0(VALU_DEP_2) | instskip(SKIP_2) | instid1(VALU_DEP_2)
	v_add_co_u32 v19, vcc_lo, v12, v24
	s_wait_alu 0xfffd
	v_add_co_ci_u32_e64 v20, null, 0, v13, vcc_lo
	v_sub_co_u32 v18, vcc_lo, v18, v19
	s_wait_alu 0xfffd
	s_delay_alu instid0(VALU_DEP_2) | instskip(NEXT) | instid1(VALU_DEP_1)
	v_sub_co_ci_u32_e64 v19, null, v11, v20, vcc_lo
                                        ; implicit-def: $vgpr20_vgpr21
	v_or_b32_e32 v11, s41, v19
	s_delay_alu instid0(VALU_DEP_1)
	v_cmpx_ne_u64_e32 0, v[10:11]
	s_wait_alu 0xfffe
	s_xor_b32 s4, exec_lo, s3
	s_cbranch_execz .LBB13_11
; %bb.10:                               ;   in Loop: Header=BB13_9 Depth=2
	s_cvt_f32_u32 s3, s40
	s_cvt_f32_u32 s5, s41
	s_sub_nc_u64 s[66:67], 0, s[40:41]
	s_wait_alu 0xfffe
	s_delay_alu instid0(SALU_CYCLE_1) | instskip(SKIP_1) | instid1(SALU_CYCLE_2)
	s_fmamk_f32 s3, s5, 0x4f800000, s3
	s_wait_alu 0xfffe
	v_s_rcp_f32 s3, s3
	s_delay_alu instid0(TRANS32_DEP_1) | instskip(SKIP_1) | instid1(SALU_CYCLE_2)
	s_mul_f32 s3, s3, 0x5f7ffffc
	s_wait_alu 0xfffe
	s_mul_f32 s5, s3, 0x2f800000
	s_wait_alu 0xfffe
	s_delay_alu instid0(SALU_CYCLE_2) | instskip(SKIP_1) | instid1(SALU_CYCLE_2)
	s_trunc_f32 s5, s5
	s_wait_alu 0xfffe
	s_fmamk_f32 s3, s5, 0xcf800000, s3
	s_cvt_u32_f32 s7, s5
	s_wait_alu 0xfffe
	s_delay_alu instid0(SALU_CYCLE_1) | instskip(SKIP_1) | instid1(SALU_CYCLE_2)
	s_cvt_u32_f32 s6, s3
	s_wait_alu 0xfffe
	s_mul_u64 s[68:69], s[66:67], s[6:7]
	s_delay_alu instid0(SALU_CYCLE_1)
	s_mul_hi_u32 s71, s6, s69
	s_mul_i32 s70, s6, s69
	s_mul_hi_u32 s8, s6, s68
	s_mul_i32 s5, s7, s68
	s_wait_alu 0xfffe
	s_add_nc_u64 s[70:71], s[8:9], s[70:71]
	s_mul_hi_u32 s3, s7, s68
	s_mul_hi_u32 s65, s7, s69
	s_add_co_u32 s5, s70, s5
	s_wait_alu 0xfffe
	s_add_co_ci_u32 s8, s71, s3
	s_mul_i32 s68, s7, s69
	s_add_co_ci_u32 s69, s65, 0
	s_wait_alu 0xfffe
	s_add_nc_u64 s[68:69], s[8:9], s[68:69]
	s_delay_alu instid0(SALU_CYCLE_1)
	s_add_co_u32 s6, s6, s68
	s_cselect_b32 s3, -1, 0
	s_wait_alu 0xfffe
	s_cmp_lg_u32 s3, 0
	s_add_co_ci_u32 s7, s7, s69
	s_wait_alu 0xfffe
	s_mul_u64 s[66:67], s[66:67], s[6:7]
	s_delay_alu instid0(SALU_CYCLE_1)
	s_mul_hi_u32 s69, s6, s67
	s_mul_i32 s68, s6, s67
	s_mul_hi_u32 s8, s6, s66
	s_mul_i32 s5, s7, s66
	s_wait_alu 0xfffe
	s_add_nc_u64 s[68:69], s[8:9], s[68:69]
	s_mul_hi_u32 s3, s7, s66
	s_mul_hi_u32 s65, s7, s67
	s_add_co_u32 s5, s68, s5
	s_wait_alu 0xfffe
	s_add_co_ci_u32 s8, s69, s3
	s_mul_i32 s66, s7, s67
	s_add_co_ci_u32 s67, s65, 0
	s_wait_alu 0xfffe
	s_add_nc_u64 s[66:67], s[8:9], s[66:67]
	s_delay_alu instid0(SALU_CYCLE_1)
	s_add_co_u32 s3, s6, s66
	s_cselect_b32 s5, -1, 0
	s_wait_alu 0xfffe
	v_mul_hi_u32 v11, v18, s3
	s_cmp_lg_u32 s5, 0
	v_mad_co_u64_u32 v[22:23], null, v19, s3, 0
	s_add_co_ci_u32 s5, s7, s67
	s_wait_alu 0xfffe
	v_mad_co_u64_u32 v[20:21], null, v18, s5, 0
	v_mad_co_u64_u32 v[25:26], null, v19, s5, 0
	s_delay_alu instid0(VALU_DEP_2) | instskip(SKIP_1) | instid1(VALU_DEP_3)
	v_add_co_u32 v11, vcc_lo, v11, v20
	s_wait_alu 0xfffd
	v_add_co_ci_u32_e64 v20, null, 0, v21, vcc_lo
	s_delay_alu instid0(VALU_DEP_2) | instskip(SKIP_1) | instid1(VALU_DEP_2)
	v_add_co_u32 v11, vcc_lo, v11, v22
	s_wait_alu 0xfffd
	v_add_co_ci_u32_e32 v11, vcc_lo, v20, v23, vcc_lo
	s_wait_alu 0xfffd
	v_add_co_ci_u32_e32 v20, vcc_lo, 0, v26, vcc_lo
	s_delay_alu instid0(VALU_DEP_2) | instskip(SKIP_1) | instid1(VALU_DEP_2)
	v_add_co_u32 v11, vcc_lo, v11, v25
	s_wait_alu 0xfffd
	v_add_co_ci_u32_e64 v22, null, 0, v20, vcc_lo
	s_delay_alu instid0(VALU_DEP_2) | instskip(SKIP_1) | instid1(VALU_DEP_3)
	v_mul_lo_u32 v23, s41, v11
	v_mad_co_u64_u32 v[20:21], null, s40, v11, 0
	v_mul_lo_u32 v25, s40, v22
	s_delay_alu instid0(VALU_DEP_2) | instskip(NEXT) | instid1(VALU_DEP_2)
	v_sub_co_u32 v18, vcc_lo, v18, v20
	v_add3_u32 v21, v21, v25, v23
	s_delay_alu instid0(VALU_DEP_1) | instskip(SKIP_2) | instid1(VALU_DEP_2)
	v_sub_nc_u32_e32 v23, v19, v21
	s_wait_alu 0xfffd
	v_sub_co_ci_u32_e64 v19, null, v19, v21, vcc_lo
	v_subrev_co_ci_u32_e64 v20, null, s41, v23, vcc_lo
	v_add_co_u32 v23, s3, v11, 2
	s_wait_alu 0xf1ff
	v_add_co_ci_u32_e64 v25, null, 0, v22, s3
	v_sub_co_u32 v26, s3, v18, s40
	s_wait_alu 0xf1ff
	v_subrev_co_ci_u32_e64 v20, null, 0, v20, s3
	v_cmp_eq_u32_e64 s3, s41, v19
	s_delay_alu instid0(VALU_DEP_3)
	v_cmp_le_u32_e32 vcc_lo, s40, v26
	s_wait_alu 0xfffd
	v_cndmask_b32_e64 v21, 0, -1, vcc_lo
	v_cmp_le_u32_e32 vcc_lo, s41, v20
	s_wait_alu 0xfffd
	v_cndmask_b32_e64 v26, 0, -1, vcc_lo
	;; [unrolled: 3-line block ×4, first 2 shown]
	v_cmp_eq_u32_e32 vcc_lo, s41, v20
	s_wait_alu 0xf1ff
	s_delay_alu instid0(VALU_DEP_2)
	v_cndmask_b32_e64 v18, v27, v18, s3
	s_wait_alu 0xfffd
	v_cndmask_b32_e32 v20, v26, v21, vcc_lo
	v_add_co_u32 v21, vcc_lo, v11, 1
	s_wait_alu 0xfffd
	v_add_co_ci_u32_e64 v26, null, 0, v22, vcc_lo
	s_delay_alu instid0(VALU_DEP_3) | instskip(SKIP_1) | instid1(VALU_DEP_2)
	v_cmp_ne_u32_e32 vcc_lo, 0, v20
	s_wait_alu 0xfffd
	v_dual_cndmask_b32 v19, v26, v25 :: v_dual_cndmask_b32 v20, v21, v23
	v_cmp_ne_u32_e32 vcc_lo, 0, v18
                                        ; implicit-def: $vgpr18
	s_wait_alu 0xfffd
	s_delay_alu instid0(VALU_DEP_2)
	v_dual_cndmask_b32 v21, v22, v19 :: v_dual_cndmask_b32 v20, v11, v20
.LBB13_11:                              ;   in Loop: Header=BB13_9 Depth=2
	s_wait_alu 0xfffe
	s_and_not1_saveexec_b32 s3, s4
	s_cbranch_execz .LBB13_13
; %bb.12:                               ;   in Loop: Header=BB13_9 Depth=2
	v_cvt_f32_u32_e32 v11, s40
	s_sub_co_i32 s4, 0, s40
	v_mov_b32_e32 v21, v10
	s_delay_alu instid0(VALU_DEP_2) | instskip(NEXT) | instid1(TRANS32_DEP_1)
	v_rcp_iflag_f32_e32 v11, v11
	v_mul_f32_e32 v11, 0x4f7ffffe, v11
	s_delay_alu instid0(VALU_DEP_1) | instskip(SKIP_1) | instid1(VALU_DEP_1)
	v_cvt_u32_f32_e32 v11, v11
	s_wait_alu 0xfffe
	v_mul_lo_u32 v19, s4, v11
	s_delay_alu instid0(VALU_DEP_1) | instskip(NEXT) | instid1(VALU_DEP_1)
	v_mul_hi_u32 v19, v11, v19
	v_add_nc_u32_e32 v11, v11, v19
	s_delay_alu instid0(VALU_DEP_1) | instskip(NEXT) | instid1(VALU_DEP_1)
	v_mul_hi_u32 v11, v18, v11
	v_mul_lo_u32 v19, v11, s40
	s_delay_alu instid0(VALU_DEP_1) | instskip(SKIP_1) | instid1(VALU_DEP_2)
	v_sub_nc_u32_e32 v18, v18, v19
	v_add_nc_u32_e32 v19, 1, v11
	v_subrev_nc_u32_e32 v20, s40, v18
	v_cmp_le_u32_e32 vcc_lo, s40, v18
	s_wait_alu 0xfffd
	s_delay_alu instid0(VALU_DEP_2) | instskip(NEXT) | instid1(VALU_DEP_1)
	v_dual_cndmask_b32 v18, v18, v20 :: v_dual_cndmask_b32 v11, v11, v19
	v_cmp_le_u32_e32 vcc_lo, s40, v18
	s_delay_alu instid0(VALU_DEP_2) | instskip(SKIP_1) | instid1(VALU_DEP_1)
	v_add_nc_u32_e32 v19, 1, v11
	s_wait_alu 0xfffd
	v_cndmask_b32_e32 v20, v11, v19, vcc_lo
.LBB13_13:                              ;   in Loop: Header=BB13_9 Depth=2
	s_wait_alu 0xfffe
	s_or_b32 exec_lo, exec_lo, s3
	v_mad_co_i64_i32 v[22:23], null, s39, v43, 0
	v_ashrrev_i32_e32 v11, 31, v43
	s_mov_b32 s3, 0
	s_delay_alu instid0(VALU_DEP_2) | instskip(SKIP_1) | instid1(VALU_DEP_3)
	v_add_co_u32 v18, vcc_lo, s22, v22
	s_wait_alu 0xfffd
	v_add_co_ci_u32_e64 v19, null, s23, v23, vcc_lo
.LBB13_14:                              ;   Parent Loop BB13_6 Depth=1
                                        ;     Parent Loop BB13_9 Depth=2
                                        ; =>    This Inner Loop Header: Depth=3
	s_delay_alu instid0(VALU_DEP_2) | instskip(SKIP_1) | instid1(VALU_DEP_2)
	v_add_co_u32 v18, vcc_lo, v18, s34
	s_wait_alu 0xfffd
	v_add_co_ci_u32_e64 v19, null, s35, v19, vcc_lo
	s_delay_alu instid0(VALU_DEP_1)
	v_cmp_lt_i64_e32 vcc_lo, -1, v[18:19]
	s_wait_alu 0xfffe
	s_or_b32 s3, vcc_lo, s3
	s_wait_alu 0xfffe
	s_and_not1_b32 exec_lo, exec_lo, s3
	s_cbranch_execnz .LBB13_14
; %bb.15:                               ;   in Loop: Header=BB13_9 Depth=2
	s_or_b32 exec_lo, exec_lo, s3
	v_sub_co_u32 v22, vcc_lo, v22, s28
	s_wait_alu 0xfffd
	v_subrev_co_ci_u32_e64 v23, null, s29, v23, vcc_lo
	v_add_co_u32 v24, vcc_lo, v24, v20
	s_wait_alu 0xfffd
	v_add_co_ci_u32_e64 v25, null, 0, v21, vcc_lo
	v_add_co_u32 v20, vcc_lo, v22, s57
	s_wait_alu 0xfffd
	v_add_co_ci_u32_e64 v21, null, s58, v23, vcc_lo
	v_mul_lo_u32 v22, v24, s31
	v_mul_lo_u32 v23, v25, s30
	v_mad_co_u64_u32 v[12:13], null, v24, s30, v[12:13]
	s_delay_alu instid0(VALU_DEP_4) | instskip(SKIP_4) | instid1(VALU_DEP_4)
	v_cmp_gt_i64_e32 vcc_lo, s[16:17], v[20:21]
	s_mov_b32 s3, -1
	s_wait_alu 0xfffd
	v_cndmask_b32_e32 v21, s17, v21, vcc_lo
	v_cndmask_b32_e32 v20, s16, v20, vcc_lo
	v_add3_u32 v13, v23, v13, v22
	s_and_b32 vcc_lo, exec_lo, s59
	s_wait_alu 0xfffe
	s_cbranch_vccnz .LBB13_18
; %bb.16:                               ;   in Loop: Header=BB13_9 Depth=2
	s_and_b32 vcc_lo, exec_lo, s3
	s_wait_alu 0xfffe
	s_cbranch_vccnz .LBB13_64
.LBB13_17:                              ;   in Loop: Header=BB13_9 Depth=2
	s_and_saveexec_b32 s4, s2
	s_cbranch_execz .LBB13_8
	s_branch .LBB13_76
.LBB13_18:                              ;   in Loop: Header=BB13_9 Depth=2
	v_ashrrev_i32_e32 v29, 31, v12
	v_mul_lo_u32 v22, s25, v12
	v_mad_co_u64_u32 v[24:25], null, s24, v12, 0
	v_mov_b32_e32 v28, v12
	s_delay_alu instid0(VALU_DEP_4) | instskip(SKIP_2) | instid1(VALU_DEP_4)
	v_mul_lo_u32 v23, s24, v29
	v_mov_b32_e32 v44, 0
	v_mov_b32_e32 v48, 0
	v_cmp_le_i64_e32 vcc_lo, v[16:17], v[28:29]
	s_delay_alu instid0(VALU_DEP_4) | instskip(SKIP_2) | instid1(VALU_DEP_3)
	v_add3_u32 v25, v25, v23, v22
	v_ashrrev_i32_e32 v23, 31, v18
	v_mov_b32_e32 v22, v18
	v_lshlrev_b64_e32 v[24:25], 1, v[24:25]
	s_delay_alu instid0(VALU_DEP_3) | instskip(NEXT) | instid1(VALU_DEP_3)
	v_mul_lo_u32 v53, s26, v23
	v_cmp_le_i64_e64 s5, v[20:21], v[22:23]
	v_mul_lo_u32 v50, s27, v22
	s_delay_alu instid0(VALU_DEP_4)
	v_add_co_u32 v30, s3, v36, v24
	s_wait_alu 0xf1ff
	v_add_co_ci_u32_e64 v31, null, v37, v25, s3
	s_or_b32 s3, vcc_lo, s5
	s_wait_alu 0xfffe
	s_nor_b32 s3, s3, s1
	s_wait_alu 0xfffe
	s_and_saveexec_b32 s4, s3
	s_cbranch_execz .LBB13_20
; %bb.19:                               ;   in Loop: Header=BB13_9 Depth=2
	v_mad_co_u64_u32 v[24:25], null, s26, v22, 0
	s_delay_alu instid0(VALU_DEP_1) | instskip(NEXT) | instid1(VALU_DEP_1)
	v_add3_u32 v25, v25, v53, v50
	v_lshlrev_b64_e32 v[24:25], 1, v[24:25]
	s_delay_alu instid0(VALU_DEP_1) | instskip(SKIP_1) | instid1(VALU_DEP_2)
	v_add_co_u32 v24, s3, v30, v24
	s_wait_alu 0xf1ff
	v_add_co_ci_u32_e64 v25, null, v31, v25, s3
	global_load_u16 v48, v[24:25], off
.LBB13_20:                              ;   in Loop: Header=BB13_9 Depth=2
	s_wait_alu 0xfffe
	s_or_b32 exec_lo, exec_lo, s4
	v_add_nc_u32_e32 v24, s43, v18
	s_delay_alu instid0(VALU_DEP_1) | instskip(SKIP_1) | instid1(VALU_DEP_2)
	v_ashrrev_i32_e32 v25, 31, v24
	v_mul_lo_u32 v54, s27, v24
	v_cmp_le_i64_e64 s6, v[20:21], v[24:25]
	v_mul_lo_u32 v55, s26, v25
	s_or_b32 s3, vcc_lo, s6
	s_wait_alu 0xfffe
	s_nor_b32 s3, s3, s1
	s_wait_alu 0xfffe
	s_and_saveexec_b32 s4, s3
	s_cbranch_execz .LBB13_22
; %bb.21:                               ;   in Loop: Header=BB13_9 Depth=2
	v_mad_co_u64_u32 v[26:27], null, s26, v24, 0
	s_delay_alu instid0(VALU_DEP_1) | instskip(NEXT) | instid1(VALU_DEP_1)
	v_add3_u32 v27, v27, v55, v54
	v_lshlrev_b64_e32 v[26:27], 1, v[26:27]
	s_delay_alu instid0(VALU_DEP_1) | instskip(SKIP_1) | instid1(VALU_DEP_2)
	v_add_co_u32 v26, s3, v30, v26
	s_wait_alu 0xf1ff
	v_add_co_ci_u32_e64 v27, null, v31, v27, s3
	global_load_u16 v44, v[26:27], off
.LBB13_22:                              ;   in Loop: Header=BB13_9 Depth=2
	s_wait_alu 0xfffe
	s_or_b32 exec_lo, exec_lo, s4
	v_dual_mov_b32 v45, 0 :: v_dual_add_nc_u32 v26, s43, v24
	v_mov_b32_e32 v49, 0
	s_delay_alu instid0(VALU_DEP_2) | instskip(SKIP_1) | instid1(VALU_DEP_2)
	v_ashrrev_i32_e32 v27, 31, v26
	v_mul_lo_u32 v56, s27, v26
	v_cmp_le_i64_e64 s7, v[20:21], v[26:27]
	v_mul_lo_u32 v57, s26, v27
	s_or_b32 s3, vcc_lo, s7
	s_wait_alu 0xfffe
	s_nor_b32 s3, s3, s1
	s_wait_alu 0xfffe
	s_and_saveexec_b32 s4, s3
	s_cbranch_execz .LBB13_24
; %bb.23:                               ;   in Loop: Header=BB13_9 Depth=2
	v_mad_co_u64_u32 v[32:33], null, s26, v26, 0
	s_delay_alu instid0(VALU_DEP_1) | instskip(NEXT) | instid1(VALU_DEP_1)
	v_add3_u32 v33, v33, v57, v56
	v_lshlrev_b64_e32 v[32:33], 1, v[32:33]
	s_delay_alu instid0(VALU_DEP_1) | instskip(SKIP_1) | instid1(VALU_DEP_2)
	v_add_co_u32 v30, s3, v30, v32
	s_wait_alu 0xf1ff
	v_add_co_ci_u32_e64 v31, null, v31, v33, s3
	global_load_u16 v49, v[30:31], off
.LBB13_24:                              ;   in Loop: Header=BB13_9 Depth=2
	s_wait_alu 0xfffe
	s_or_b32 exec_lo, exec_lo, s4
	v_add_nc_u32_e32 v30, s42, v12
	s_delay_alu instid0(VALU_DEP_1) | instskip(SKIP_2) | instid1(VALU_DEP_3)
	v_ashrrev_i32_e32 v31, 31, v30
	v_mul_lo_u32 v46, s25, v30
	v_mad_co_u64_u32 v[32:33], null, s24, v30, 0
	v_mul_lo_u32 v47, s24, v31
	v_cmp_le_i64_e64 s3, v[16:17], v[30:31]
	s_delay_alu instid0(VALU_DEP_2) | instskip(NEXT) | instid1(VALU_DEP_1)
	v_add3_u32 v33, v33, v47, v46
	v_lshlrev_b64_e32 v[32:33], 1, v[32:33]
	s_delay_alu instid0(VALU_DEP_1) | instskip(SKIP_1) | instid1(VALU_DEP_2)
	v_add_co_u32 v32, s4, v36, v32
	s_wait_alu 0xf1ff
	v_add_co_ci_u32_e64 v33, null, v37, v33, s4
	s_or_b32 s4, s3, s5
	s_wait_alu 0xfffe
	s_nor_b32 s4, s4, s1
	s_wait_alu 0xfffe
	s_and_saveexec_b32 s8, s4
	s_cbranch_execz .LBB13_26
; %bb.25:                               ;   in Loop: Header=BB13_9 Depth=2
	v_mad_co_u64_u32 v[45:46], null, s26, v22, 0
	s_delay_alu instid0(VALU_DEP_1) | instskip(NEXT) | instid1(VALU_DEP_1)
	v_add3_u32 v46, v46, v53, v50
	v_lshlrev_b64_e32 v[45:46], 1, v[45:46]
	s_delay_alu instid0(VALU_DEP_1) | instskip(SKIP_1) | instid1(VALU_DEP_2)
	v_add_co_u32 v45, s4, v32, v45
	s_wait_alu 0xf1ff
	v_add_co_ci_u32_e64 v46, null, v33, v46, s4
	global_load_u16 v45, v[45:46], off
.LBB13_26:                              ;   in Loop: Header=BB13_9 Depth=2
	s_wait_alu 0xfffe
	s_or_b32 exec_lo, exec_lo, s8
	v_dual_mov_b32 v46, 0 :: v_dual_mov_b32 v51, 0
	s_or_b32 s4, s3, s6
	s_wait_alu 0xfffe
	s_nor_b32 s4, s4, s1
	s_wait_alu 0xfffe
	s_and_saveexec_b32 s8, s4
	s_cbranch_execz .LBB13_28
; %bb.27:                               ;   in Loop: Header=BB13_9 Depth=2
	v_mad_co_u64_u32 v[51:52], null, s26, v24, 0
	s_delay_alu instid0(VALU_DEP_1) | instskip(NEXT) | instid1(VALU_DEP_1)
	v_add3_u32 v52, v52, v55, v54
	v_lshlrev_b64_e32 v[51:52], 1, v[51:52]
	s_delay_alu instid0(VALU_DEP_1) | instskip(SKIP_1) | instid1(VALU_DEP_2)
	v_add_co_u32 v51, s4, v32, v51
	s_wait_alu 0xf1ff
	v_add_co_ci_u32_e64 v52, null, v33, v52, s4
	global_load_u16 v51, v[51:52], off
.LBB13_28:                              ;   in Loop: Header=BB13_9 Depth=2
	s_wait_alu 0xfffe
	s_or_b32 exec_lo, exec_lo, s8
	s_or_b32 s4, s3, s7
	s_wait_alu 0xfffe
	s_nor_b32 s4, s4, s1
	s_wait_alu 0xfffe
	s_and_saveexec_b32 s8, s4
	s_cbranch_execz .LBB13_30
; %bb.29:                               ;   in Loop: Header=BB13_9 Depth=2
	v_mad_co_u64_u32 v[46:47], null, s26, v26, 0
	s_delay_alu instid0(VALU_DEP_1) | instskip(NEXT) | instid1(VALU_DEP_1)
	v_add3_u32 v47, v47, v57, v56
	v_lshlrev_b64_e32 v[46:47], 1, v[46:47]
	s_delay_alu instid0(VALU_DEP_1) | instskip(SKIP_1) | instid1(VALU_DEP_2)
	v_add_co_u32 v32, s4, v32, v46
	s_wait_alu 0xf1ff
	v_add_co_ci_u32_e64 v33, null, v33, v47, s4
	global_load_u16 v46, v[32:33], off
.LBB13_30:                              ;   in Loop: Header=BB13_9 Depth=2
	s_wait_alu 0xfffe
	s_or_b32 exec_lo, exec_lo, s8
	v_add_nc_u32_e32 v32, s42, v30
	s_delay_alu instid0(VALU_DEP_1) | instskip(SKIP_2) | instid1(VALU_DEP_3)
	v_ashrrev_i32_e32 v33, 31, v32
	v_mul_lo_u32 v47, s25, v32
	v_mad_co_u64_u32 v[58:59], null, s24, v32, 0
	v_mul_lo_u32 v52, s24, v33
	s_delay_alu instid0(VALU_DEP_1) | instskip(SKIP_3) | instid1(VALU_DEP_4)
	v_add3_u32 v59, v59, v52, v47
	v_mov_b32_e32 v47, 0
	v_cmp_le_i64_e64 s4, v[16:17], v[32:33]
	v_mov_b32_e32 v52, 0
	v_lshlrev_b64_e32 v[58:59], 1, v[58:59]
	s_delay_alu instid0(VALU_DEP_1) | instskip(SKIP_1) | instid1(VALU_DEP_2)
	v_add_co_u32 v58, s8, v36, v58
	s_wait_alu 0xf1ff
	v_add_co_ci_u32_e64 v59, null, v37, v59, s8
	s_or_b32 s8, s4, s5
	s_wait_alu 0xfffe
	s_nor_b32 s8, s8, s1
	s_wait_alu 0xfffe
	s_and_saveexec_b32 s65, s8
	s_cbranch_execz .LBB13_32
; %bb.31:                               ;   in Loop: Header=BB13_9 Depth=2
	v_mad_co_u64_u32 v[60:61], null, s26, v22, 0
	s_delay_alu instid0(VALU_DEP_1) | instskip(NEXT) | instid1(VALU_DEP_1)
	v_add3_u32 v61, v61, v53, v50
	v_lshlrev_b64_e32 v[52:53], 1, v[60:61]
	s_delay_alu instid0(VALU_DEP_1) | instskip(SKIP_1) | instid1(VALU_DEP_2)
	v_add_co_u32 v52, s8, v58, v52
	s_wait_alu 0xf1ff
	v_add_co_ci_u32_e64 v53, null, v59, v53, s8
	global_load_u16 v52, v[52:53], off
.LBB13_32:                              ;   in Loop: Header=BB13_9 Depth=2
	s_or_b32 exec_lo, exec_lo, s65
	s_or_b32 s8, s4, s6
	s_wait_alu 0xfffe
	s_nor_b32 s8, s8, s1
	s_wait_alu 0xfffe
	s_and_saveexec_b32 s65, s8
	s_cbranch_execz .LBB13_34
; %bb.33:                               ;   in Loop: Header=BB13_9 Depth=2
	v_mad_co_u64_u32 v[60:61], null, s26, v24, 0
	s_delay_alu instid0(VALU_DEP_1) | instskip(NEXT) | instid1(VALU_DEP_1)
	v_add3_u32 v61, v61, v55, v54
	v_lshlrev_b64_e32 v[53:54], 1, v[60:61]
	s_delay_alu instid0(VALU_DEP_1) | instskip(SKIP_1) | instid1(VALU_DEP_2)
	v_add_co_u32 v53, s8, v58, v53
	s_wait_alu 0xf1ff
	v_add_co_ci_u32_e64 v54, null, v59, v54, s8
	global_load_u16 v47, v[53:54], off
.LBB13_34:                              ;   in Loop: Header=BB13_9 Depth=2
	s_or_b32 exec_lo, exec_lo, s65
	v_mov_b32_e32 v50, 0
	s_or_b32 s8, s4, s7
	s_wait_alu 0xfffe
	s_nor_b32 s8, s8, s1
	s_wait_alu 0xfffe
	s_and_saveexec_b32 s65, s8
	s_cbranch_execz .LBB13_36
; %bb.35:                               ;   in Loop: Header=BB13_9 Depth=2
	v_mad_co_u64_u32 v[53:54], null, s26, v26, 0
	s_delay_alu instid0(VALU_DEP_1) | instskip(NEXT) | instid1(VALU_DEP_1)
	v_add3_u32 v54, v54, v57, v56
	v_lshlrev_b64_e32 v[53:54], 1, v[53:54]
	s_delay_alu instid0(VALU_DEP_1) | instskip(SKIP_1) | instid1(VALU_DEP_2)
	v_add_co_u32 v53, s8, v58, v53
	s_wait_alu 0xf1ff
	v_add_co_ci_u32_e64 v54, null, v59, v54, s8
	global_load_u16 v50, v[53:54], off
.LBB13_36:                              ;   in Loop: Header=BB13_9 Depth=2
	s_or_b32 exec_lo, exec_lo, s65
	v_mul_lo_u32 v53, s17, v28
	v_mul_lo_u32 v54, s16, v29
	v_mad_co_u64_u32 v[28:29], null, s16, v28, 0
	s_or_b32 s65, s1, s5
	s_delay_alu instid0(SALU_CYCLE_1)
	s_nor_b32 s5, vcc_lo, s65
	v_add3_u32 v29, v29, v54, v53
	s_wait_alu 0xfffe
	s_and_saveexec_b32 s66, s5
	s_cbranch_execz .LBB13_39
; %bb.37:                               ;   in Loop: Header=BB13_9 Depth=2
	ds_load_u16 v53, v38
	s_wait_loadcnt 0x0
	v_lshlrev_b32_e32 v54, 16, v48
	s_delay_alu instid0(VALU_DEP_1) | instskip(SKIP_2) | instid1(VALU_DEP_1)
	v_cmp_u_f32_e64 s8, v54, v54
	s_wait_dscnt 0x0
	v_lshlrev_b32_e32 v53, 16, v53
	v_cmp_gt_f32_e64 s5, v54, v53
	s_or_b32 s5, s8, s5
	s_wait_alu 0xfffe
	s_and_b32 exec_lo, exec_lo, s5
	s_cbranch_execz .LBB13_39
; %bb.38:                               ;   in Loop: Header=BB13_9 Depth=2
	v_add_co_u32 v53, s5, v28, v22
	s_wait_alu 0xf1ff
	v_add_co_ci_u32_e64 v54, null, v29, v23, s5
	ds_store_b16 v38, v48
	ds_store_b64 v39, v[53:54]
.LBB13_39:                              ;   in Loop: Header=BB13_9 Depth=2
	s_or_b32 exec_lo, exec_lo, s66
	s_or_b32 s8, s1, s6
	s_wait_alu 0xfffe
	s_nor_b32 s5, vcc_lo, s8
	s_wait_alu 0xfffe
	s_and_saveexec_b32 s66, s5
	s_cbranch_execz .LBB13_42
; %bb.40:                               ;   in Loop: Header=BB13_9 Depth=2
	s_wait_loadcnt 0x0
	ds_load_u16 v48, v38
	v_lshlrev_b32_e32 v53, 16, v44
	s_delay_alu instid0(VALU_DEP_1) | instskip(SKIP_2) | instid1(VALU_DEP_1)
	v_cmp_u_f32_e64 s6, v53, v53
	s_wait_dscnt 0x0
	v_lshlrev_b32_e32 v48, 16, v48
	v_cmp_gt_f32_e64 s5, v53, v48
	s_or_b32 s5, s6, s5
	s_wait_alu 0xfffe
	s_and_b32 exec_lo, exec_lo, s5
	s_cbranch_execz .LBB13_42
; %bb.41:                               ;   in Loop: Header=BB13_9 Depth=2
	v_add_co_u32 v53, s5, v28, v24
	s_wait_alu 0xf1ff
	v_add_co_ci_u32_e64 v54, null, v29, v25, s5
	ds_store_b16 v38, v44
	ds_store_b64 v39, v[53:54]
.LBB13_42:                              ;   in Loop: Header=BB13_9 Depth=2
	s_or_b32 exec_lo, exec_lo, s66
	s_or_b32 s6, s1, s7
	s_wait_alu 0xfffe
	s_nor_b32 s5, vcc_lo, s6
	s_wait_alu 0xfffe
	s_and_saveexec_b32 s7, s5
	s_cbranch_execz .LBB13_45
; %bb.43:                               ;   in Loop: Header=BB13_9 Depth=2
	s_wait_loadcnt 0x0
	ds_load_u16 v44, v38
	v_lshlrev_b32_e32 v48, 16, v49
	s_delay_alu instid0(VALU_DEP_1) | instskip(SKIP_2) | instid1(VALU_DEP_1)
	v_cmp_u_f32_e64 s5, v48, v48
	s_wait_dscnt 0x0
	v_lshlrev_b32_e32 v44, 16, v44
	v_cmp_gt_f32_e32 vcc_lo, v48, v44
	s_or_b32 s5, s5, vcc_lo
	s_wait_alu 0xfffe
	s_and_b32 exec_lo, exec_lo, s5
	s_cbranch_execz .LBB13_45
; %bb.44:                               ;   in Loop: Header=BB13_9 Depth=2
	v_add_co_u32 v28, vcc_lo, v28, v26
	s_wait_alu 0xfffd
	v_add_co_ci_u32_e64 v29, null, v29, v27, vcc_lo
	ds_store_b16 v38, v49
	ds_store_b64 v39, v[28:29]
.LBB13_45:                              ;   in Loop: Header=BB13_9 Depth=2
	s_wait_alu 0xfffe
	s_or_b32 exec_lo, exec_lo, s7
	s_wait_loadcnt 0x0
	v_mul_lo_u32 v44, s17, v30
	v_mul_lo_u32 v31, s16, v31
	v_mad_co_u64_u32 v[28:29], null, s16, v30, 0
	s_nor_b32 s5, s3, s65
	v_add3_u32 v29, v29, v31, v44
	s_wait_alu 0xfffe
	s_and_saveexec_b32 s7, s5
	s_cbranch_execz .LBB13_48
; %bb.46:                               ;   in Loop: Header=BB13_9 Depth=2
	ds_load_u16 v30, v38
	v_lshlrev_b32_e32 v31, 16, v45
	s_delay_alu instid0(VALU_DEP_1) | instskip(SKIP_2) | instid1(VALU_DEP_1)
	v_cmp_u_f32_e64 s5, v31, v31
	s_wait_dscnt 0x0
	v_lshlrev_b32_e32 v30, 16, v30
	v_cmp_gt_f32_e32 vcc_lo, v31, v30
	s_or_b32 s5, s5, vcc_lo
	s_wait_alu 0xfffe
	s_and_b32 exec_lo, exec_lo, s5
	s_cbranch_execz .LBB13_48
; %bb.47:                               ;   in Loop: Header=BB13_9 Depth=2
	v_add_co_u32 v30, vcc_lo, v28, v22
	s_wait_alu 0xfffd
	v_add_co_ci_u32_e64 v31, null, v29, v23, vcc_lo
	ds_store_b16 v38, v45
	ds_store_b64 v39, v[30:31]
.LBB13_48:                              ;   in Loop: Header=BB13_9 Depth=2
	s_wait_alu 0xfffe
	s_or_b32 exec_lo, exec_lo, s7
	s_nor_b32 s5, s3, s8
	s_wait_alu 0xfffe
	s_and_saveexec_b32 s7, s5
	s_cbranch_execz .LBB13_51
; %bb.49:                               ;   in Loop: Header=BB13_9 Depth=2
	ds_load_u16 v30, v38
	v_lshlrev_b32_e32 v31, 16, v51
	s_delay_alu instid0(VALU_DEP_1) | instskip(SKIP_2) | instid1(VALU_DEP_1)
	v_cmp_u_f32_e64 s5, v31, v31
	s_wait_dscnt 0x0
	v_lshlrev_b32_e32 v30, 16, v30
	v_cmp_gt_f32_e32 vcc_lo, v31, v30
	s_or_b32 s5, s5, vcc_lo
	s_wait_alu 0xfffe
	s_and_b32 exec_lo, exec_lo, s5
	s_cbranch_execz .LBB13_51
; %bb.50:                               ;   in Loop: Header=BB13_9 Depth=2
	v_add_co_u32 v30, vcc_lo, v28, v24
	s_wait_alu 0xfffd
	v_add_co_ci_u32_e64 v31, null, v29, v25, vcc_lo
	ds_store_b16 v38, v51
	ds_store_b64 v39, v[30:31]
.LBB13_51:                              ;   in Loop: Header=BB13_9 Depth=2
	s_wait_alu 0xfffe
	s_or_b32 exec_lo, exec_lo, s7
	s_nor_b32 s3, s3, s6
	s_wait_alu 0xfffe
	s_and_saveexec_b32 s5, s3
	s_cbranch_execz .LBB13_54
; %bb.52:                               ;   in Loop: Header=BB13_9 Depth=2
	ds_load_u16 v30, v38
	v_lshlrev_b32_e32 v31, 16, v46
	s_delay_alu instid0(VALU_DEP_1) | instskip(SKIP_2) | instid1(VALU_DEP_1)
	v_cmp_u_f32_e64 s3, v31, v31
	s_wait_dscnt 0x0
	v_lshlrev_b32_e32 v30, 16, v30
	v_cmp_gt_f32_e32 vcc_lo, v31, v30
	s_or_b32 s3, s3, vcc_lo
	s_wait_alu 0xfffe
	s_and_b32 exec_lo, exec_lo, s3
	s_cbranch_execz .LBB13_54
; %bb.53:                               ;   in Loop: Header=BB13_9 Depth=2
	v_add_co_u32 v28, vcc_lo, v28, v26
	s_wait_alu 0xfffd
	v_add_co_ci_u32_e64 v29, null, v29, v27, vcc_lo
	ds_store_b16 v38, v46
	ds_store_b64 v39, v[28:29]
.LBB13_54:                              ;   in Loop: Header=BB13_9 Depth=2
	s_wait_alu 0xfffe
	s_or_b32 exec_lo, exec_lo, s5
	v_mul_lo_u32 v30, s17, v32
	v_mul_lo_u32 v31, s16, v33
	v_mad_co_u64_u32 v[28:29], null, s16, v32, 0
	s_nor_b32 s3, s4, s65
	v_add3_u32 v29, v29, v31, v30
	s_wait_alu 0xfffe
	s_and_saveexec_b32 s5, s3
	s_cbranch_execz .LBB13_57
; %bb.55:                               ;   in Loop: Header=BB13_9 Depth=2
	ds_load_u16 v30, v38
	v_lshlrev_b32_e32 v31, 16, v52
	s_delay_alu instid0(VALU_DEP_1) | instskip(SKIP_2) | instid1(VALU_DEP_1)
	v_cmp_u_f32_e64 s3, v31, v31
	s_wait_dscnt 0x0
	v_lshlrev_b32_e32 v30, 16, v30
	v_cmp_gt_f32_e32 vcc_lo, v31, v30
	s_or_b32 s3, s3, vcc_lo
	s_wait_alu 0xfffe
	s_and_b32 exec_lo, exec_lo, s3
	s_cbranch_execz .LBB13_57
; %bb.56:                               ;   in Loop: Header=BB13_9 Depth=2
	v_add_co_u32 v22, vcc_lo, v28, v22
	s_wait_alu 0xfffd
	v_add_co_ci_u32_e64 v23, null, v29, v23, vcc_lo
	ds_store_b16 v38, v52
	ds_store_b64 v39, v[22:23]
.LBB13_57:                              ;   in Loop: Header=BB13_9 Depth=2
	s_wait_alu 0xfffe
	s_or_b32 exec_lo, exec_lo, s5
	s_nor_b32 s3, s4, s8
	s_wait_alu 0xfffe
	s_and_saveexec_b32 s5, s3
	s_cbranch_execz .LBB13_60
; %bb.58:                               ;   in Loop: Header=BB13_9 Depth=2
	ds_load_u16 v22, v38
	v_lshlrev_b32_e32 v23, 16, v47
	s_delay_alu instid0(VALU_DEP_1) | instskip(SKIP_2) | instid1(VALU_DEP_1)
	v_cmp_u_f32_e64 s3, v23, v23
	s_wait_dscnt 0x0
	v_lshlrev_b32_e32 v22, 16, v22
	v_cmp_gt_f32_e32 vcc_lo, v23, v22
	s_or_b32 s3, s3, vcc_lo
	s_wait_alu 0xfffe
	s_and_b32 exec_lo, exec_lo, s3
	s_cbranch_execz .LBB13_60
; %bb.59:                               ;   in Loop: Header=BB13_9 Depth=2
	v_add_co_u32 v22, vcc_lo, v28, v24
	s_wait_alu 0xfffd
	v_add_co_ci_u32_e64 v23, null, v29, v25, vcc_lo
	ds_store_b16 v38, v47
	ds_store_b64 v39, v[22:23]
.LBB13_60:                              ;   in Loop: Header=BB13_9 Depth=2
	s_wait_alu 0xfffe
	s_or_b32 exec_lo, exec_lo, s5
	s_nor_b32 s3, s4, s6
	s_wait_alu 0xfffe
	s_and_saveexec_b32 s4, s3
	s_cbranch_execz .LBB13_63
; %bb.61:                               ;   in Loop: Header=BB13_9 Depth=2
	ds_load_u16 v22, v38
	v_lshlrev_b32_e32 v23, 16, v50
	s_delay_alu instid0(VALU_DEP_1) | instskip(SKIP_2) | instid1(VALU_DEP_1)
	v_cmp_u_f32_e64 s3, v23, v23
	s_wait_dscnt 0x0
	v_lshlrev_b32_e32 v22, 16, v22
	v_cmp_gt_f32_e32 vcc_lo, v23, v22
	s_or_b32 s3, s3, vcc_lo
	s_wait_alu 0xfffe
	s_and_b32 exec_lo, exec_lo, s3
	s_cbranch_execz .LBB13_63
; %bb.62:                               ;   in Loop: Header=BB13_9 Depth=2
	v_add_co_u32 v22, vcc_lo, v28, v26
	s_wait_alu 0xfffd
	v_add_co_ci_u32_e64 v23, null, v29, v27, vcc_lo
	ds_store_b16 v38, v50
	ds_store_b64 v39, v[22:23]
.LBB13_63:                              ;   in Loop: Header=BB13_9 Depth=2
	s_wait_alu 0xfffe
	s_or_b32 exec_lo, exec_lo, s4
	s_branch .LBB13_17
.LBB13_64:                              ;   in Loop: Header=BB13_9 Depth=2
	s_mov_b32 s5, exec_lo
	v_cmpx_lt_i64_e64 v[12:13], v[16:17]
	s_cbranch_execz .LBB13_75
; %bb.65:                               ;   in Loop: Header=BB13_9 Depth=2
	v_dual_mov_b32 v23, v13 :: v_dual_mov_b32 v22, v12
	s_mov_b32 s6, 0
	v_cmp_lt_i64_e32 vcc_lo, v[18:19], v[20:21]
	s_branch .LBB13_67
.LBB13_66:                              ;   in Loop: Header=BB13_67 Depth=3
	s_wait_alu 0xfffe
	s_or_b32 exec_lo, exec_lo, s7
	v_add_co_u32 v22, s3, v22, s30
	s_wait_alu 0xf1ff
	v_add_co_ci_u32_e64 v23, null, s31, v23, s3
	s_delay_alu instid0(VALU_DEP_1)
	v_cmp_ge_i64_e64 s3, v[22:23], v[16:17]
	s_or_b32 s6, s3, s6
	s_wait_alu 0xfffe
	s_and_not1_b32 exec_lo, exec_lo, s6
	s_cbranch_execz .LBB13_75
.LBB13_67:                              ;   Parent Loop BB13_6 Depth=1
                                        ;     Parent Loop BB13_9 Depth=2
                                        ; =>    This Loop Header: Depth=3
                                        ;         Child Loop BB13_70 Depth 4
                                        ;           Child Loop BB13_73 Depth 5
	s_and_saveexec_b32 s7, vcc_lo
	s_cbranch_execz .LBB13_66
; %bb.68:                               ;   in Loop: Header=BB13_67 Depth=3
	v_mul_lo_u32 v24, v23, s24
	v_mul_lo_u32 v25, v22, s25
	v_mad_co_u64_u32 v[26:27], null, v22, s24, 0
	v_mul_lo_u32 v28, v23, s16
	v_mul_lo_u32 v29, v22, s17
	s_mov_b32 s8, 0
	s_delay_alu instid0(VALU_DEP_3) | instskip(SKIP_1) | instid1(VALU_DEP_2)
	v_add3_u32 v27, v27, v25, v24
	v_mad_co_u64_u32 v[24:25], null, v22, s16, 0
	v_lshlrev_b64_e32 v[26:27], 1, v[26:27]
	s_delay_alu instid0(VALU_DEP_2) | instskip(NEXT) | instid1(VALU_DEP_2)
	v_add3_u32 v25, v25, v29, v28
	v_add_co_u32 v44, s3, s20, v26
	s_wait_alu 0xf1ff
	s_delay_alu instid0(VALU_DEP_3)
	v_add_co_ci_u32_e64 v45, null, s21, v27, s3
	v_dual_mov_b32 v27, v19 :: v_dual_mov_b32 v26, v18
	s_branch .LBB13_70
.LBB13_69:                              ;   in Loop: Header=BB13_70 Depth=4
	s_or_b32 exec_lo, exec_lo, s65
	v_add_co_u32 v26, s3, v26, s34
	s_wait_alu 0xf1ff
	v_add_co_ci_u32_e64 v27, null, s35, v27, s3
	s_delay_alu instid0(VALU_DEP_1)
	v_cmp_ge_i64_e64 s3, v[26:27], v[20:21]
	s_wait_alu 0xfffe
	s_or_b32 s8, s3, s8
	s_wait_alu 0xfffe
	s_and_not1_b32 exec_lo, exec_lo, s8
	s_cbranch_execz .LBB13_66
.LBB13_70:                              ;   Parent Loop BB13_6 Depth=1
                                        ;     Parent Loop BB13_9 Depth=2
                                        ;       Parent Loop BB13_67 Depth=3
                                        ; =>      This Loop Header: Depth=4
                                        ;           Child Loop BB13_73 Depth 5
	s_and_saveexec_b32 s65, s2
	s_cbranch_execz .LBB13_69
; %bb.71:                               ;   in Loop: Header=BB13_70 Depth=4
	s_delay_alu instid0(VALU_DEP_1) | instskip(SKIP_4) | instid1(VALU_DEP_2)
	v_mul_lo_u32 v30, v27, s26
	v_mul_lo_u32 v31, v26, s27
	v_mad_co_u64_u32 v[28:29], null, v26, s26, 0
	v_dual_mov_b32 v46, v41 :: v_dual_mov_b32 v47, v40
	s_mov_b32 s66, 0
	v_add3_u32 v29, v29, v31, v30
	v_dual_mov_b32 v31, v5 :: v_dual_mov_b32 v30, v4
	s_delay_alu instid0(VALU_DEP_2) | instskip(SKIP_3) | instid1(VALU_DEP_3)
	v_lshlrev_b64_e32 v[32:33], 1, v[28:29]
	v_add_co_u32 v28, s3, v26, v24
	s_wait_alu 0xf1ff
	v_add_co_ci_u32_e64 v29, null, v27, v25, s3
	v_add_co_u32 v48, s3, v44, v32
	s_wait_alu 0xf1ff
	v_add_co_ci_u32_e64 v49, null, v45, v33, s3
	v_dual_mov_b32 v33, v3 :: v_dual_mov_b32 v32, v2
	s_branch .LBB13_73
.LBB13_72:                              ;   in Loop: Header=BB13_73 Depth=5
	s_wait_alu 0xfffe
	s_or_b32 exec_lo, exec_lo, s3
	v_add_co_u32 v32, s3, v32, s36
	s_wait_alu 0xf1ff
	v_add_co_ci_u32_e64 v33, null, s37, v33, s3
	v_add_co_u32 v30, s4, v30, s44
	s_wait_alu 0xf1ff
	v_add_co_ci_u32_e64 v31, null, s45, v31, s4
	s_delay_alu instid0(VALU_DEP_3) | instskip(SKIP_3) | instid1(SALU_CYCLE_1)
	v_cmp_le_i64_e64 s3, s[12:13], v[32:33]
	v_add_nc_u32_e32 v47, s60, v47
	v_add_nc_u32_e32 v46, s61, v46
	s_or_b32 s66, s3, s66
	s_and_not1_b32 exec_lo, exec_lo, s66
	s_cbranch_execz .LBB13_69
.LBB13_73:                              ;   Parent Loop BB13_6 Depth=1
                                        ;     Parent Loop BB13_9 Depth=2
                                        ;       Parent Loop BB13_67 Depth=3
                                        ;         Parent Loop BB13_70 Depth=4
                                        ; =>        This Inner Loop Header: Depth=5
	v_lshlrev_b64_e32 v[50:51], 1, v[30:31]
	s_delay_alu instid0(VALU_DEP_1) | instskip(SKIP_1) | instid1(VALU_DEP_2)
	v_add_co_u32 v50, s3, v48, v50
	s_wait_alu 0xf1ff
	v_add_co_ci_u32_e64 v51, null, v49, v51, s3
	global_load_u16 v50, v[50:51], off
	ds_load_u16 v51, v47
	s_wait_dscnt 0x0
	v_lshlrev_b32_e32 v51, 16, v51
	s_wait_loadcnt 0x0
	v_lshlrev_b32_e32 v52, 16, v50
	s_delay_alu instid0(VALU_DEP_1)
	v_cmp_gt_f32_e64 s3, v52, v51
	v_cmp_u_f32_e64 s4, v52, v52
	s_or_b32 s4, s4, s3
	s_wait_alu 0xfffe
	s_and_saveexec_b32 s3, s4
	s_cbranch_execz .LBB13_72
; %bb.74:                               ;   in Loop: Header=BB13_73 Depth=5
	ds_store_b16 v47, v50
	ds_store_b64 v46, v[28:29]
	s_branch .LBB13_72
.LBB13_75:                              ;   in Loop: Header=BB13_9 Depth=2
	s_wait_alu 0xfffe
	s_or_b32 exec_lo, exec_lo, s5
	s_and_saveexec_b32 s4, s2
	s_cbranch_execz .LBB13_8
.LBB13_76:                              ;   in Loop: Header=BB13_9 Depth=2
	v_add_co_u32 v18, vcc_lo, v14, v43
	s_wait_alu 0xfffd
	v_add_co_ci_u32_e64 v19, null, v15, v11, vcc_lo
	v_mov_b32_e32 v24, v41
	s_mov_b32 s5, 0
	s_delay_alu instid0(VALU_DEP_2) | instskip(SKIP_1) | instid1(VALU_DEP_2)
	v_lshlrev_b64_e32 v[20:21], 3, v[18:19]
	v_lshlrev_b64_e32 v[18:19], 1, v[18:19]
	v_add_co_u32 v11, vcc_lo, s18, v20
	s_wait_alu 0xfffd
	s_delay_alu instid0(VALU_DEP_3) | instskip(NEXT) | instid1(VALU_DEP_3)
	v_add_co_ci_u32_e64 v20, null, s19, v21, vcc_lo
	v_add_co_u32 v21, vcc_lo, s48, v18
	s_wait_alu 0xfffd
	v_add_co_ci_u32_e64 v22, null, s49, v19, vcc_lo
	s_delay_alu instid0(VALU_DEP_3) | instskip(SKIP_2) | instid1(VALU_DEP_4)
	v_mul_lo_u32 v23, s12, v20
	v_mul_lo_u32 v25, s13, v11
	v_mad_co_u64_u32 v[18:19], null, s12, v11, v[6:7]
	v_mul_lo_u32 v11, s12, v22
	v_mul_lo_u32 v22, s13, v21
	v_mad_co_u64_u32 v[20:21], null, s12, v21, v[8:9]
	s_delay_alu instid0(VALU_DEP_4) | instskip(SKIP_1) | instid1(VALU_DEP_3)
	v_add3_u32 v19, v25, v19, v23
	v_mov_b32_e32 v25, v40
	v_add3_u32 v21, v22, v21, v11
	v_dual_mov_b32 v23, v3 :: v_dual_mov_b32 v22, v2
.LBB13_77:                              ;   Parent Loop BB13_6 Depth=1
                                        ;     Parent Loop BB13_9 Depth=2
                                        ; =>    This Inner Loop Header: Depth=3
	ds_load_u16 v28, v25
	ds_load_b64 v[26:27], v24
	v_add_co_u32 v22, vcc_lo, v22, s36
	v_mov_b32_e32 v11, v10
	s_wait_alu 0xfffd
	v_add_co_ci_u32_e64 v23, null, s37, v23, vcc_lo
	ds_store_b16 v25, v42
	v_add_nc_u32_e32 v25, s60, v25
	ds_store_b64 v24, v[10:11]
	v_cmp_le_i64_e32 vcc_lo, s[12:13], v[22:23]
	v_add_nc_u32_e32 v24, s61, v24
	s_wait_dscnt 0x3
	global_store_b16 v[20:21], v28, off
	s_wait_dscnt 0x2
	global_store_b64 v[18:19], v[26:27], off
	v_add_co_u32 v18, s3, v18, s46
	s_wait_alu 0xf1ff
	v_add_co_ci_u32_e64 v19, null, s47, v19, s3
	v_add_co_u32 v20, s3, v20, s50
	s_wait_alu 0xf1ff
	v_add_co_ci_u32_e64 v21, null, s51, v21, s3
	s_wait_alu 0xfffe
	s_or_b32 s5, vcc_lo, s5
	s_wait_alu 0xfffe
	s_and_not1_b32 exec_lo, exec_lo, s5
	s_cbranch_execnz .LBB13_77
	s_branch .LBB13_8
.LBB13_78:
	s_endpgm
	.section	.rodata,"a",@progbits
	.p2align	6, 0x0
	.amdhsa_kernel _ZN2at6native12_GLOBAL__N_121max_pool_forward_nhwcIN3c108BFloat16ElEEvPKT_iT0_S8_S8_S8_S8_iiiiiiiiS8_S8_S8_S8_iiPS5_Pl
		.amdhsa_group_segment_fixed_size 0
		.amdhsa_private_segment_fixed_size 0
		.amdhsa_kernarg_size 400
		.amdhsa_user_sgpr_count 2
		.amdhsa_user_sgpr_dispatch_ptr 0
		.amdhsa_user_sgpr_queue_ptr 0
		.amdhsa_user_sgpr_kernarg_segment_ptr 1
		.amdhsa_user_sgpr_dispatch_id 0
		.amdhsa_user_sgpr_private_segment_size 0
		.amdhsa_wavefront_size32 1
		.amdhsa_uses_dynamic_stack 0
		.amdhsa_enable_private_segment 0
		.amdhsa_system_sgpr_workgroup_id_x 1
		.amdhsa_system_sgpr_workgroup_id_y 1
		.amdhsa_system_sgpr_workgroup_id_z 1
		.amdhsa_system_sgpr_workgroup_info 0
		.amdhsa_system_vgpr_workitem_id 2
		.amdhsa_next_free_vgpr 62
		.amdhsa_next_free_sgpr 72
		.amdhsa_reserve_vcc 1
		.amdhsa_float_round_mode_32 0
		.amdhsa_float_round_mode_16_64 0
		.amdhsa_float_denorm_mode_32 3
		.amdhsa_float_denorm_mode_16_64 3
		.amdhsa_fp16_overflow 0
		.amdhsa_workgroup_processor_mode 1
		.amdhsa_memory_ordered 1
		.amdhsa_forward_progress 1
		.amdhsa_inst_pref_size 47
		.amdhsa_round_robin_scheduling 0
		.amdhsa_exception_fp_ieee_invalid_op 0
		.amdhsa_exception_fp_denorm_src 0
		.amdhsa_exception_fp_ieee_div_zero 0
		.amdhsa_exception_fp_ieee_overflow 0
		.amdhsa_exception_fp_ieee_underflow 0
		.amdhsa_exception_fp_ieee_inexact 0
		.amdhsa_exception_int_div_zero 0
	.end_amdhsa_kernel
	.section	.text._ZN2at6native12_GLOBAL__N_121max_pool_forward_nhwcIN3c108BFloat16ElEEvPKT_iT0_S8_S8_S8_S8_iiiiiiiiS8_S8_S8_S8_iiPS5_Pl,"axG",@progbits,_ZN2at6native12_GLOBAL__N_121max_pool_forward_nhwcIN3c108BFloat16ElEEvPKT_iT0_S8_S8_S8_S8_iiiiiiiiS8_S8_S8_S8_iiPS5_Pl,comdat
.Lfunc_end13:
	.size	_ZN2at6native12_GLOBAL__N_121max_pool_forward_nhwcIN3c108BFloat16ElEEvPKT_iT0_S8_S8_S8_S8_iiiiiiiiS8_S8_S8_S8_iiPS5_Pl, .Lfunc_end13-_ZN2at6native12_GLOBAL__N_121max_pool_forward_nhwcIN3c108BFloat16ElEEvPKT_iT0_S8_S8_S8_S8_iiiiiiiiS8_S8_S8_S8_iiPS5_Pl
                                        ; -- End function
	.set _ZN2at6native12_GLOBAL__N_121max_pool_forward_nhwcIN3c108BFloat16ElEEvPKT_iT0_S8_S8_S8_S8_iiiiiiiiS8_S8_S8_S8_iiPS5_Pl.num_vgpr, 62
	.set _ZN2at6native12_GLOBAL__N_121max_pool_forward_nhwcIN3c108BFloat16ElEEvPKT_iT0_S8_S8_S8_S8_iiiiiiiiS8_S8_S8_S8_iiPS5_Pl.num_agpr, 0
	.set _ZN2at6native12_GLOBAL__N_121max_pool_forward_nhwcIN3c108BFloat16ElEEvPKT_iT0_S8_S8_S8_S8_iiiiiiiiS8_S8_S8_S8_iiPS5_Pl.numbered_sgpr, 72
	.set _ZN2at6native12_GLOBAL__N_121max_pool_forward_nhwcIN3c108BFloat16ElEEvPKT_iT0_S8_S8_S8_S8_iiiiiiiiS8_S8_S8_S8_iiPS5_Pl.num_named_barrier, 0
	.set _ZN2at6native12_GLOBAL__N_121max_pool_forward_nhwcIN3c108BFloat16ElEEvPKT_iT0_S8_S8_S8_S8_iiiiiiiiS8_S8_S8_S8_iiPS5_Pl.private_seg_size, 0
	.set _ZN2at6native12_GLOBAL__N_121max_pool_forward_nhwcIN3c108BFloat16ElEEvPKT_iT0_S8_S8_S8_S8_iiiiiiiiS8_S8_S8_S8_iiPS5_Pl.uses_vcc, 1
	.set _ZN2at6native12_GLOBAL__N_121max_pool_forward_nhwcIN3c108BFloat16ElEEvPKT_iT0_S8_S8_S8_S8_iiiiiiiiS8_S8_S8_S8_iiPS5_Pl.uses_flat_scratch, 0
	.set _ZN2at6native12_GLOBAL__N_121max_pool_forward_nhwcIN3c108BFloat16ElEEvPKT_iT0_S8_S8_S8_S8_iiiiiiiiS8_S8_S8_S8_iiPS5_Pl.has_dyn_sized_stack, 0
	.set _ZN2at6native12_GLOBAL__N_121max_pool_forward_nhwcIN3c108BFloat16ElEEvPKT_iT0_S8_S8_S8_S8_iiiiiiiiS8_S8_S8_S8_iiPS5_Pl.has_recursion, 0
	.set _ZN2at6native12_GLOBAL__N_121max_pool_forward_nhwcIN3c108BFloat16ElEEvPKT_iT0_S8_S8_S8_S8_iiiiiiiiS8_S8_S8_S8_iiPS5_Pl.has_indirect_call, 0
	.section	.AMDGPU.csdata,"",@progbits
; Kernel info:
; codeLenInByte = 5956
; TotalNumSgprs: 74
; NumVgprs: 62
; ScratchSize: 0
; MemoryBound: 0
; FloatMode: 240
; IeeeMode: 1
; LDSByteSize: 0 bytes/workgroup (compile time only)
; SGPRBlocks: 0
; VGPRBlocks: 7
; NumSGPRsForWavesPerEU: 74
; NumVGPRsForWavesPerEU: 62
; Occupancy: 16
; WaveLimiterHint : 1
; COMPUTE_PGM_RSRC2:SCRATCH_EN: 0
; COMPUTE_PGM_RSRC2:USER_SGPR: 2
; COMPUTE_PGM_RSRC2:TRAP_HANDLER: 0
; COMPUTE_PGM_RSRC2:TGID_X_EN: 1
; COMPUTE_PGM_RSRC2:TGID_Y_EN: 1
; COMPUTE_PGM_RSRC2:TGID_Z_EN: 1
; COMPUTE_PGM_RSRC2:TIDIG_COMP_CNT: 2
	.section	.text._ZN2at6native12_GLOBAL__N_121max_pool_forward_nchwIN3c108BFloat16EiEEvT0_PKT_llliiiiiiiiiiPS6_Pl,"axG",@progbits,_ZN2at6native12_GLOBAL__N_121max_pool_forward_nchwIN3c108BFloat16EiEEvT0_PKT_llliiiiiiiiiiPS6_Pl,comdat
	.globl	_ZN2at6native12_GLOBAL__N_121max_pool_forward_nchwIN3c108BFloat16EiEEvT0_PKT_llliiiiiiiiiiPS6_Pl ; -- Begin function _ZN2at6native12_GLOBAL__N_121max_pool_forward_nchwIN3c108BFloat16EiEEvT0_PKT_llliiiiiiiiiiPS6_Pl
	.p2align	8
	.type	_ZN2at6native12_GLOBAL__N_121max_pool_forward_nchwIN3c108BFloat16EiEEvT0_PKT_llliiiiiiiiiiPS6_Pl,@function
_ZN2at6native12_GLOBAL__N_121max_pool_forward_nchwIN3c108BFloat16EiEEvT0_PKT_llliiiiiiiiiiPS6_Pl: ; @_ZN2at6native12_GLOBAL__N_121max_pool_forward_nchwIN3c108BFloat16EiEEvT0_PKT_llliiiiiiiiiiPS6_Pl
; %bb.0:
	s_clause 0x1
	s_load_b32 s2, s[0:1], 0x6c
	s_load_b32 s20, s[0:1], 0x0
	v_mov_b32_e32 v1, 0
	s_mov_b32 s3, exec_lo
	s_wait_kmcnt 0x0
	s_and_b32 s2, s2, 0xffff
	s_ashr_i32 s21, s20, 31
	v_mad_co_u64_u32 v[0:1], null, s2, ttmp9, v[0:1]
	s_delay_alu instid0(VALU_DEP_1)
	v_cmpx_gt_i64_e64 s[20:21], v[0:1]
	s_cbranch_execz .LBB14_11
; %bb.1:
	s_clause 0x1
	s_load_b256 s[4:11], s[0:1], 0x28
	s_load_b64 s[22:23], s[0:1], 0x48
	s_add_nc_u64 s[26:27], s[0:1], 0x60
	s_clause 0x2
	s_load_b64 s[24:25], s[0:1], 0x8
	s_load_b128 s[12:15], s[0:1], 0x18
	s_load_b128 s[16:19], s[0:1], 0x50
	s_load_b32 s0, s[26:27], 0x0
	s_mov_b32 s3, 0
	s_wait_kmcnt 0x0
	s_add_co_i32 s1, s6, -1
	s_add_co_i32 s6, s7, -1
	s_abs_i32 s34, s5
	s_abs_i32 s36, s4
	s_max_u32 s30, s22, 1
	s_wait_alu 0xfffe
	s_mul_i32 s38, s22, s1
	s_mul_i32 s39, s23, s6
	s_cvt_f32_u32 s1, s34
	s_cvt_f32_u32 s6, s36
	s_max_u32 s31, s23, 1
	s_cvt_f32_u32 s7, s30
	s_cvt_f32_u32 s26, s31
	s_wait_alu 0xfffe
	v_rcp_iflag_f32_e32 v2, s1
	v_rcp_iflag_f32_e32 v3, s6
	;; [unrolled: 1-line block ×4, first 2 shown]
	s_mul_i32 s37, s0, s2
	s_sub_co_i32 s0, 0, s34
	s_sub_co_i32 s1, 0, s36
	;; [unrolled: 1-line block ×4, first 2 shown]
	s_ashr_i32 s29, s23, 31
	v_readfirstlane_b32 s7, v2
	v_readfirstlane_b32 s26, v3
	;; [unrolled: 1-line block ×4, first 2 shown]
	s_ashr_i32 s33, s5, 31
	s_mul_f32 s7, s7, 0x4f7ffffe
	s_mul_f32 s26, s26, 0x4f7ffffe
	;; [unrolled: 1-line block ×4, first 2 shown]
	s_wait_alu 0xfffe
	s_cvt_u32_f32 s7, s7
	s_cvt_u32_f32 s26, s26
	s_cvt_u32_f32 s27, s27
	s_cvt_u32_f32 s28, s28
	s_wait_alu 0xfffe
	s_mul_i32 s0, s0, s7
	s_mul_i32 s1, s1, s26
	;; [unrolled: 1-line block ×3, first 2 shown]
	s_wait_alu 0xfffe
	s_mul_hi_u32 s0, s7, s0
	s_mul_hi_u32 s1, s26, s1
	s_mul_i32 s6, s6, s28
	s_mul_hi_u32 s2, s27, s2
	s_wait_alu 0xfffe
	s_add_co_i32 s40, s7, s0
	s_add_co_i32 s41, s26, s1
	s_mul_u64 s[0:1], s[14:15], s[12:13]
	s_add_co_i32 s42, s27, s2
	s_mul_hi_u32 s2, s28, s6
	s_wait_alu 0xfffe
	s_lshl_b64 s[6:7], s[0:1], 1
	s_ashr_i32 s1, s22, 31
	s_mov_b32 s0, s22
	s_add_co_i32 s13, s28, s2
	s_wait_alu 0xfffe
	s_mul_u64 s[0:1], s[14:15], s[0:1]
	s_mov_b32 s28, s23
	s_ashr_i32 s35, s4, 31
	s_add_co_i32 s38, s38, 1
	s_add_co_i32 s39, s39, 1
	s_sub_co_i32 s43, 0, s11
	s_wait_alu 0xfffe
	s_lshl_b64 s[26:27], s[0:1], 1
	s_lshl_b64 s[28:29], s[28:29], 1
	s_mul_i32 s44, s22, s14
	s_branch .LBB14_4
.LBB14_2:                               ;   in Loop: Header=BB14_4 Depth=1
	s_or_b32 exec_lo, exec_lo, s46
.LBB14_3:                               ;   in Loop: Header=BB14_4 Depth=1
	s_wait_alu 0xfffe
	s_or_b32 exec_lo, exec_lo, s45
	v_lshlrev_b64_e32 v[3:4], 1, v[0:1]
	v_lshlrev_b64_e32 v[5:6], 3, v[0:1]
	v_add_co_u32 v0, vcc_lo, v0, s37
	s_wait_alu 0xfffd
	v_add_co_ci_u32_e64 v1, null, 0, v1, vcc_lo
	s_delay_alu instid0(VALU_DEP_4) | instskip(SKIP_2) | instid1(VALU_DEP_3)
	v_add_co_u32 v7, vcc_lo, s16, v3
	s_wait_alu 0xfffd
	v_add_co_ci_u32_e64 v8, null, s17, v4, vcc_lo
	v_cmp_le_i64_e32 vcc_lo, s[20:21], v[0:1]
	v_add_co_u32 v4, s0, s18, v5
	v_ashrrev_i32_e32 v3, 31, v2
	s_wait_alu 0xf1ff
	v_add_co_ci_u32_e64 v5, null, s19, v6, s0
	s_or_b32 s3, vcc_lo, s3
	global_store_b16 v[7:8], v10, off
	global_store_b64 v[4:5], v[2:3], off
	s_wait_alu 0xfffe
	s_and_not1_b32 exec_lo, exec_lo, s3
	s_cbranch_execz .LBB14_11
.LBB14_4:                               ; =>This Loop Header: Depth=1
                                        ;     Child Loop BB14_7 Depth 2
                                        ;       Child Loop BB14_9 Depth 3
	v_sub_nc_u32_e32 v2, 0, v0
	s_mov_b32 s45, exec_lo
	s_delay_alu instid0(VALU_DEP_1) | instskip(NEXT) | instid1(VALU_DEP_1)
	v_max_i32_e32 v2, v0, v2
	v_mul_hi_u32 v3, v2, s40
	s_delay_alu instid0(VALU_DEP_1) | instskip(NEXT) | instid1(VALU_DEP_1)
	v_mul_lo_u32 v4, v3, s34
	v_sub_nc_u32_e32 v2, v2, v4
	v_add_nc_u32_e32 v4, 1, v3
	s_delay_alu instid0(VALU_DEP_2) | instskip(SKIP_2) | instid1(VALU_DEP_2)
	v_subrev_nc_u32_e32 v5, s34, v2
	v_cmp_le_u32_e32 vcc_lo, s34, v2
	s_wait_alu 0xfffd
	v_dual_cndmask_b32 v3, v3, v4 :: v_dual_cndmask_b32 v2, v2, v5
	v_ashrrev_i32_e32 v4, 31, v0
	s_delay_alu instid0(VALU_DEP_2) | instskip(NEXT) | instid1(VALU_DEP_3)
	v_add_nc_u32_e32 v5, 1, v3
	v_cmp_le_u32_e32 vcc_lo, s34, v2
	s_delay_alu instid0(VALU_DEP_3) | instskip(SKIP_1) | instid1(VALU_DEP_3)
	v_xor_b32_e32 v4, s33, v4
	s_wait_alu 0xfffd
	v_cndmask_b32_e32 v2, v3, v5, vcc_lo
	s_delay_alu instid0(VALU_DEP_1) | instskip(NEXT) | instid1(VALU_DEP_1)
	v_xor_b32_e32 v2, v2, v4
	v_sub_nc_u32_e32 v2, v2, v4
	s_delay_alu instid0(VALU_DEP_1) | instskip(NEXT) | instid1(VALU_DEP_1)
	v_sub_nc_u32_e32 v3, 0, v2
	v_max_i32_e32 v3, v2, v3
	s_delay_alu instid0(VALU_DEP_1) | instskip(NEXT) | instid1(VALU_DEP_1)
	v_mul_hi_u32 v4, v3, s41
	v_mul_lo_u32 v5, v4, s36
	s_delay_alu instid0(VALU_DEP_1) | instskip(SKIP_1) | instid1(VALU_DEP_2)
	v_sub_nc_u32_e32 v3, v3, v5
	v_add_nc_u32_e32 v5, 1, v4
	v_subrev_nc_u32_e32 v6, s36, v3
	v_cmp_le_u32_e32 vcc_lo, s36, v3
	s_wait_alu 0xfffd
	s_delay_alu instid0(VALU_DEP_2) | instskip(SKIP_1) | instid1(VALU_DEP_2)
	v_dual_cndmask_b32 v4, v4, v5 :: v_dual_cndmask_b32 v3, v3, v6
	v_ashrrev_i32_e32 v5, 31, v2
	v_add_nc_u32_e32 v6, 1, v4
	s_delay_alu instid0(VALU_DEP_3) | instskip(NEXT) | instid1(VALU_DEP_3)
	v_cmp_le_u32_e32 vcc_lo, s36, v3
	v_xor_b32_e32 v5, s35, v5
	s_wait_alu 0xfffd
	s_delay_alu instid0(VALU_DEP_3) | instskip(SKIP_1) | instid1(VALU_DEP_2)
	v_cndmask_b32_e32 v3, v4, v6, vcc_lo
	v_mul_lo_u32 v4, v2, s5
	v_xor_b32_e32 v3, v3, v5
	s_delay_alu instid0(VALU_DEP_1) | instskip(NEXT) | instid1(VALU_DEP_1)
	v_sub_nc_u32_e32 v5, v3, v5
	v_mul_lo_u32 v3, v5, s4
	s_delay_alu instid0(VALU_DEP_1) | instskip(SKIP_1) | instid1(VALU_DEP_2)
	v_sub_nc_u32_e32 v2, v2, v3
	v_sub_nc_u32_e32 v3, v0, v4
	v_mul_lo_u32 v4, v2, s8
	s_delay_alu instid0(VALU_DEP_2) | instskip(NEXT) | instid1(VALU_DEP_2)
	v_mul_lo_u32 v7, v3, s9
	v_subrev_nc_u32_e32 v2, s10, v4
	s_delay_alu instid0(VALU_DEP_2) | instskip(NEXT) | instid1(VALU_DEP_2)
	v_subrev_nc_u32_e32 v6, s11, v7
	v_max_i32_e32 v3, 0, v2
	s_delay_alu instid0(VALU_DEP_2) | instskip(NEXT) | instid1(VALU_DEP_2)
	v_max_i32_e32 v8, 0, v6
	v_add_nc_u32_e32 v3, s10, v3
	s_delay_alu instid0(VALU_DEP_2) | instskip(NEXT) | instid1(VALU_DEP_2)
	v_add_nc_u32_e32 v8, s11, v8
	v_cmp_ne_u32_e32 vcc_lo, v3, v4
	s_delay_alu instid0(VALU_DEP_2) | instskip(SKIP_3) | instid1(VALU_DEP_2)
	v_cmp_ne_u32_e64 s0, v8, v7
	s_wait_alu 0xfffd
	v_cndmask_b32_e64 v9, 0, 1, vcc_lo
	s_wait_alu 0xf1ff
	v_cndmask_b32_e64 v10, 0, 1, s0
	s_delay_alu instid0(VALU_DEP_2) | instskip(NEXT) | instid1(VALU_DEP_2)
	v_add_nc_u32_e32 v4, v4, v9
	v_add_nc_u32_e32 v9, v7, v10
	s_delay_alu instid0(VALU_DEP_2) | instskip(NEXT) | instid1(VALU_DEP_2)
	v_sub_nc_u32_e32 v3, v3, v4
	v_sub_nc_u32_e32 v4, v8, v9
	s_delay_alu instid0(VALU_DEP_2) | instskip(NEXT) | instid1(VALU_DEP_2)
	v_mul_hi_u32 v8, v3, s42
	v_mul_hi_u32 v9, v4, s13
	s_delay_alu instid0(VALU_DEP_2) | instskip(NEXT) | instid1(VALU_DEP_2)
	v_mul_lo_u32 v10, v8, s30
	v_mul_lo_u32 v11, v9, s31
	s_delay_alu instid0(VALU_DEP_2) | instskip(SKIP_1) | instid1(VALU_DEP_3)
	v_sub_nc_u32_e32 v3, v3, v10
	v_add_nc_u32_e32 v10, 1, v8
	v_sub_nc_u32_e32 v4, v4, v11
	v_add_nc_u32_e32 v11, 1, v9
	s_delay_alu instid0(VALU_DEP_4) | instskip(SKIP_1) | instid1(VALU_DEP_4)
	v_subrev_nc_u32_e32 v12, s30, v3
	v_cmp_le_u32_e64 s1, s30, v3
	v_cmp_le_u32_e64 s2, s31, v4
	s_wait_alu 0xf1ff
	s_delay_alu instid0(VALU_DEP_2) | instskip(SKIP_3) | instid1(VALU_DEP_4)
	v_cndmask_b32_e64 v8, v8, v10, s1
	v_subrev_nc_u32_e32 v10, s31, v4
	v_cndmask_b32_e64 v3, v3, v12, s1
	v_cndmask_b32_e64 v9, v9, v11, s2
	v_add_nc_u32_e32 v11, 1, v8
	s_delay_alu instid0(VALU_DEP_4) | instskip(NEXT) | instid1(VALU_DEP_4)
	v_cndmask_b32_e64 v4, v4, v10, s2
	v_cmp_le_u32_e64 s1, s30, v3
	s_delay_alu instid0(VALU_DEP_4) | instskip(SKIP_1) | instid1(VALU_DEP_2)
	v_add_nc_u32_e32 v10, 1, v9
	s_wait_alu 0xf1ff
	v_cndmask_b32_e64 v3, v8, v11, s1
	v_cmp_le_u32_e64 s1, s31, v4
	s_delay_alu instid0(VALU_DEP_2) | instskip(SKIP_1) | instid1(VALU_DEP_2)
	v_add_co_ci_u32_e64 v3, null, 0, v3, vcc_lo
	s_wait_alu 0xf1ff
	v_cndmask_b32_e64 v4, v9, v10, s1
	v_mov_b32_e32 v10, 0xffffff80
	s_delay_alu instid0(VALU_DEP_2) | instskip(SKIP_2) | instid1(VALU_DEP_3)
	v_add_co_ci_u32_e64 v8, null, 0, v4, s0
	v_mad_co_u64_u32 v[3:4], null, s22, v3, v[2:3]
	v_add_nc_u32_e32 v2, s38, v2
	v_mul_lo_u32 v4, s23, v8
	s_delay_alu instid0(VALU_DEP_2) | instskip(NEXT) | instid1(VALU_DEP_4)
	v_min_i32_e32 v9, s12, v2
	v_mul_lo_u32 v8, v3, s14
	s_delay_alu instid0(VALU_DEP_3) | instskip(NEXT) | instid1(VALU_DEP_1)
	v_add_nc_u32_e32 v11, v6, v4
	v_add_nc_u32_e32 v2, v11, v8
	s_delay_alu instid0(VALU_DEP_4)
	v_cmpx_lt_i32_e64 v3, v9
	s_cbranch_execz .LBB14_3
; %bb.5:                                ;   in Loop: Header=BB14_4 Depth=1
	v_add3_u32 v12, s43, v4, v7
	v_ashrrev_i32_e32 v4, 31, v3
	v_mul_lo_u32 v7, s15, v3
	v_add_nc_u32_e32 v6, s39, v6
	s_mov_b32 s46, 0
	v_ashrrev_i32_e32 v13, 31, v12
	v_mul_lo_u32 v4, s14, v4
	s_delay_alu instid0(VALU_DEP_2) | instskip(NEXT) | instid1(VALU_DEP_1)
	v_mad_co_u64_u32 v[12:13], null, s14, v3, v[12:13]
	v_add3_u32 v13, v7, v13, v4
	v_ashrrev_i32_e32 v4, 31, v5
	v_mul_lo_u32 v7, s7, v5
	s_delay_alu instid0(VALU_DEP_3) | instskip(NEXT) | instid1(VALU_DEP_3)
	v_lshlrev_b64_e32 v[12:13], 1, v[12:13]
	v_mul_lo_u32 v10, s6, v4
	s_delay_alu instid0(VALU_DEP_2) | instskip(SKIP_1) | instid1(VALU_DEP_1)
	v_mad_co_u64_u32 v[4:5], null, s6, v5, v[12:13]
	v_min_i32_e32 v12, s14, v6
	v_cmp_lt_i32_e32 vcc_lo, v11, v12
	s_delay_alu instid0(VALU_DEP_3) | instskip(NEXT) | instid1(VALU_DEP_4)
	v_add3_u32 v5, v7, v5, v10
	v_add_co_u32 v4, s0, s24, v4
	v_mov_b32_e32 v10, 0xffffff80
	s_wait_alu 0xf1ff
	s_delay_alu instid0(VALU_DEP_3)
	v_add_co_ci_u32_e64 v5, null, s25, v5, s0
	s_branch .LBB14_7
.LBB14_6:                               ;   in Loop: Header=BB14_7 Depth=2
	s_or_b32 exec_lo, exec_lo, s47
	v_add_nc_u32_e32 v3, s22, v3
	s_wait_alu 0xfffe
	v_add_co_u32 v4, s1, v4, s26
	s_wait_alu 0xf1ff
	v_add_co_ci_u32_e64 v5, null, s27, v5, s1
	v_cmp_ge_i32_e64 s0, v3, v9
	v_add_nc_u32_e32 v8, s44, v8
	s_or_b32 s46, s0, s46
	s_delay_alu instid0(SALU_CYCLE_1)
	s_and_not1_b32 exec_lo, exec_lo, s46
	s_cbranch_execz .LBB14_2
.LBB14_7:                               ;   Parent Loop BB14_4 Depth=1
                                        ; =>  This Loop Header: Depth=2
                                        ;       Child Loop BB14_9 Depth 3
	s_and_saveexec_b32 s47, vcc_lo
	s_cbranch_execz .LBB14_6
; %bb.8:                                ;   in Loop: Header=BB14_7 Depth=2
	s_delay_alu instid0(VALU_DEP_1)
	v_dual_mov_b32 v7, v5 :: v_dual_mov_b32 v6, v4
	v_mov_b32_e32 v13, v11
	s_mov_b32 s48, 0
.LBB14_9:                               ;   Parent Loop BB14_4 Depth=1
                                        ;     Parent Loop BB14_7 Depth=2
                                        ; =>    This Inner Loop Header: Depth=3
	global_load_u16 v14, v[6:7], off
	v_lshlrev_b32_e32 v15, 16, v10
	v_add_nc_u32_e32 v17, v8, v13
	v_add_nc_u32_e32 v13, s23, v13
	v_add_co_u32 v6, s2, v6, s28
	s_wait_alu 0xf1ff
	v_add_co_ci_u32_e64 v7, null, s29, v7, s2
	s_delay_alu instid0(VALU_DEP_3) | instskip(SKIP_2) | instid1(VALU_DEP_1)
	v_cmp_ge_i32_e64 s2, v13, v12
	s_wait_loadcnt 0x0
	v_lshlrev_b32_e32 v16, 16, v14
	v_cmp_gt_f32_e64 s0, v16, v15
	v_cmp_u_f32_e64 s1, v16, v16
	s_or_b32 s0, s0, s1
	s_or_b32 s48, s2, s48
	s_wait_alu 0xfffe
	v_cndmask_b32_e64 v10, v10, v14, s0
	v_cndmask_b32_e64 v2, v2, v17, s0
	s_and_not1_b32 exec_lo, exec_lo, s48
	s_cbranch_execnz .LBB14_9
; %bb.10:                               ;   in Loop: Header=BB14_7 Depth=2
	s_or_b32 exec_lo, exec_lo, s48
	s_branch .LBB14_6
.LBB14_11:
	s_endpgm
	.section	.rodata,"a",@progbits
	.p2align	6, 0x0
	.amdhsa_kernel _ZN2at6native12_GLOBAL__N_121max_pool_forward_nchwIN3c108BFloat16EiEEvT0_PKT_llliiiiiiiiiiPS6_Pl
		.amdhsa_group_segment_fixed_size 0
		.amdhsa_private_segment_fixed_size 0
		.amdhsa_kernarg_size 352
		.amdhsa_user_sgpr_count 2
		.amdhsa_user_sgpr_dispatch_ptr 0
		.amdhsa_user_sgpr_queue_ptr 0
		.amdhsa_user_sgpr_kernarg_segment_ptr 1
		.amdhsa_user_sgpr_dispatch_id 0
		.amdhsa_user_sgpr_private_segment_size 0
		.amdhsa_wavefront_size32 1
		.amdhsa_uses_dynamic_stack 0
		.amdhsa_enable_private_segment 0
		.amdhsa_system_sgpr_workgroup_id_x 1
		.amdhsa_system_sgpr_workgroup_id_y 0
		.amdhsa_system_sgpr_workgroup_id_z 0
		.amdhsa_system_sgpr_workgroup_info 0
		.amdhsa_system_vgpr_workitem_id 0
		.amdhsa_next_free_vgpr 18
		.amdhsa_next_free_sgpr 49
		.amdhsa_reserve_vcc 1
		.amdhsa_float_round_mode_32 0
		.amdhsa_float_round_mode_16_64 0
		.amdhsa_float_denorm_mode_32 3
		.amdhsa_float_denorm_mode_16_64 3
		.amdhsa_fp16_overflow 0
		.amdhsa_workgroup_processor_mode 1
		.amdhsa_memory_ordered 1
		.amdhsa_forward_progress 1
		.amdhsa_inst_pref_size 13
		.amdhsa_round_robin_scheduling 0
		.amdhsa_exception_fp_ieee_invalid_op 0
		.amdhsa_exception_fp_denorm_src 0
		.amdhsa_exception_fp_ieee_div_zero 0
		.amdhsa_exception_fp_ieee_overflow 0
		.amdhsa_exception_fp_ieee_underflow 0
		.amdhsa_exception_fp_ieee_inexact 0
		.amdhsa_exception_int_div_zero 0
	.end_amdhsa_kernel
	.section	.text._ZN2at6native12_GLOBAL__N_121max_pool_forward_nchwIN3c108BFloat16EiEEvT0_PKT_llliiiiiiiiiiPS6_Pl,"axG",@progbits,_ZN2at6native12_GLOBAL__N_121max_pool_forward_nchwIN3c108BFloat16EiEEvT0_PKT_llliiiiiiiiiiPS6_Pl,comdat
.Lfunc_end14:
	.size	_ZN2at6native12_GLOBAL__N_121max_pool_forward_nchwIN3c108BFloat16EiEEvT0_PKT_llliiiiiiiiiiPS6_Pl, .Lfunc_end14-_ZN2at6native12_GLOBAL__N_121max_pool_forward_nchwIN3c108BFloat16EiEEvT0_PKT_llliiiiiiiiiiPS6_Pl
                                        ; -- End function
	.set _ZN2at6native12_GLOBAL__N_121max_pool_forward_nchwIN3c108BFloat16EiEEvT0_PKT_llliiiiiiiiiiPS6_Pl.num_vgpr, 18
	.set _ZN2at6native12_GLOBAL__N_121max_pool_forward_nchwIN3c108BFloat16EiEEvT0_PKT_llliiiiiiiiiiPS6_Pl.num_agpr, 0
	.set _ZN2at6native12_GLOBAL__N_121max_pool_forward_nchwIN3c108BFloat16EiEEvT0_PKT_llliiiiiiiiiiPS6_Pl.numbered_sgpr, 49
	.set _ZN2at6native12_GLOBAL__N_121max_pool_forward_nchwIN3c108BFloat16EiEEvT0_PKT_llliiiiiiiiiiPS6_Pl.num_named_barrier, 0
	.set _ZN2at6native12_GLOBAL__N_121max_pool_forward_nchwIN3c108BFloat16EiEEvT0_PKT_llliiiiiiiiiiPS6_Pl.private_seg_size, 0
	.set _ZN2at6native12_GLOBAL__N_121max_pool_forward_nchwIN3c108BFloat16EiEEvT0_PKT_llliiiiiiiiiiPS6_Pl.uses_vcc, 1
	.set _ZN2at6native12_GLOBAL__N_121max_pool_forward_nchwIN3c108BFloat16EiEEvT0_PKT_llliiiiiiiiiiPS6_Pl.uses_flat_scratch, 0
	.set _ZN2at6native12_GLOBAL__N_121max_pool_forward_nchwIN3c108BFloat16EiEEvT0_PKT_llliiiiiiiiiiPS6_Pl.has_dyn_sized_stack, 0
	.set _ZN2at6native12_GLOBAL__N_121max_pool_forward_nchwIN3c108BFloat16EiEEvT0_PKT_llliiiiiiiiiiPS6_Pl.has_recursion, 0
	.set _ZN2at6native12_GLOBAL__N_121max_pool_forward_nchwIN3c108BFloat16EiEEvT0_PKT_llliiiiiiiiiiPS6_Pl.has_indirect_call, 0
	.section	.AMDGPU.csdata,"",@progbits
; Kernel info:
; codeLenInByte = 1592
; TotalNumSgprs: 51
; NumVgprs: 18
; ScratchSize: 0
; MemoryBound: 0
; FloatMode: 240
; IeeeMode: 1
; LDSByteSize: 0 bytes/workgroup (compile time only)
; SGPRBlocks: 0
; VGPRBlocks: 2
; NumSGPRsForWavesPerEU: 51
; NumVGPRsForWavesPerEU: 18
; Occupancy: 16
; WaveLimiterHint : 0
; COMPUTE_PGM_RSRC2:SCRATCH_EN: 0
; COMPUTE_PGM_RSRC2:USER_SGPR: 2
; COMPUTE_PGM_RSRC2:TRAP_HANDLER: 0
; COMPUTE_PGM_RSRC2:TGID_X_EN: 1
; COMPUTE_PGM_RSRC2:TGID_Y_EN: 0
; COMPUTE_PGM_RSRC2:TGID_Z_EN: 0
; COMPUTE_PGM_RSRC2:TIDIG_COMP_CNT: 0
	.section	.text._ZN2at6native12_GLOBAL__N_121max_pool_forward_nchwIN3c108BFloat16ElEEvT0_PKT_llliiiiiiiiiiPS6_Pl,"axG",@progbits,_ZN2at6native12_GLOBAL__N_121max_pool_forward_nchwIN3c108BFloat16ElEEvT0_PKT_llliiiiiiiiiiPS6_Pl,comdat
	.globl	_ZN2at6native12_GLOBAL__N_121max_pool_forward_nchwIN3c108BFloat16ElEEvT0_PKT_llliiiiiiiiiiPS6_Pl ; -- Begin function _ZN2at6native12_GLOBAL__N_121max_pool_forward_nchwIN3c108BFloat16ElEEvT0_PKT_llliiiiiiiiiiPS6_Pl
	.p2align	8
	.type	_ZN2at6native12_GLOBAL__N_121max_pool_forward_nchwIN3c108BFloat16ElEEvT0_PKT_llliiiiiiiiiiPS6_Pl,@function
_ZN2at6native12_GLOBAL__N_121max_pool_forward_nchwIN3c108BFloat16ElEEvT0_PKT_llliiiiiiiiiiPS6_Pl: ; @_ZN2at6native12_GLOBAL__N_121max_pool_forward_nchwIN3c108BFloat16ElEEvT0_PKT_llliiiiiiiiiiPS6_Pl
; %bb.0:
	s_clause 0x1
	s_load_b32 s2, s[0:1], 0x6c
	s_load_b128 s[12:15], s[0:1], 0x0
	v_mov_b32_e32 v2, 0
	s_mov_b32 s3, exec_lo
	s_delay_alu instid0(VALU_DEP_1)
	v_mov_b32_e32 v1, v2
	s_wait_kmcnt 0x0
	s_and_b32 s2, s2, 0xffff
	s_delay_alu instid0(VALU_DEP_1) | instid1(SALU_CYCLE_1)
	v_mad_co_u64_u32 v[0:1], null, s2, ttmp9, v[0:1]
	s_delay_alu instid0(VALU_DEP_1)
	v_cmpx_gt_i64_e64 s[12:13], v[0:1]
	s_cbranch_execz .LBB15_27
; %bb.1:
	s_clause 0x1
	s_load_b256 s[4:11], s[0:1], 0x28
	s_load_b64 s[24:25], s[0:1], 0x48
	s_add_nc_u64 s[26:27], s[0:1], 0x60
	s_clause 0x1
	s_load_b128 s[16:19], s[0:1], 0x18
	s_load_b128 s[20:23], s[0:1], 0x50
	s_load_b32 s0, s[26:27], 0x0
	s_wait_kmcnt 0x0
	s_mov_b32 s26, s5
	v_cvt_f32_u32_e32 v4, s4
	v_cvt_f32_u32_e32 v3, s26
	s_add_co_i32 s1, s6, -1
	s_add_co_i32 s3, s7, -1
	s_ashr_i32 s7, s24, 31
	v_rcp_iflag_f32_e32 v4, v4
	v_rcp_iflag_f32_e32 v3, v3
	s_mov_b32 s6, s24
	s_ashr_i32 s33, s8, 31
	s_mov_b32 s42, s8
	s_ashr_i32 s45, s9, 31
	;; [unrolled: 2-line block ×3, first 2 shown]
	s_mov_b32 s8, s25
	s_wait_alu 0xfffe
	s_mul_i32 s49, s24, s1
	v_cmp_gt_u64_e64 s1, s[6:7], 1
	v_cmp_gt_u64_e64 s28, s[8:9], 1
	v_dual_mul_f32 v3, 0x4f7ffffe, v3 :: v_dual_mul_f32 v4, 0x4f7ffffe, v4
	s_mul_i32 s50, s25, s3
	s_ashr_i32 s27, s5, 31
	s_ashr_i32 s5, s4, 31
	;; [unrolled: 1-line block ×4, first 2 shown]
	s_add_co_i32 s49, s49, 1
	s_add_co_i32 s50, s50, 1
	s_mul_i32 s51, s0, s2
	s_and_b32 s0, s1, exec_lo
	s_mov_b32 s44, s10
	s_mov_b32 s48, s11
	s_cselect_b32 s11, s7, 0
	s_cselect_b32 s10, s24, 1
	s_and_b32 s0, s28, exec_lo
	v_cvt_u32_f32_e32 v15, v3
	v_cvt_u32_f32_e32 v16, v4
	s_mul_u64 s[0:1], s[18:19], s[16:17]
	s_mov_b32 s3, 0
	s_cselect_b32 s29, s9, 0
	s_cselect_b32 s28, s25, 1
	s_wait_alu 0xfffe
	s_lshl_b64 s[30:31], s[0:1], 1
	s_lshl_b64 s[34:35], s[8:9], 1
	s_ashr_i32 s36, s27, 31
	s_mov_b32 s17, 0
	s_branch .LBB15_4
.LBB15_2:                               ;   in Loop: Header=BB15_4 Depth=1
	s_or_b32 exec_lo, exec_lo, s38
.LBB15_3:                               ;   in Loop: Header=BB15_4 Depth=1
	s_wait_alu 0xfffe
	s_or_b32 exec_lo, exec_lo, s37
	v_lshlrev_b64_e32 v[3:4], 1, v[0:1]
	v_lshlrev_b64_e32 v[5:6], 3, v[0:1]
	v_add_co_u32 v0, vcc_lo, v0, s51
	s_wait_alu 0xfffd
	v_add_co_ci_u32_e64 v1, null, 0, v1, vcc_lo
	s_delay_alu instid0(VALU_DEP_4) | instskip(SKIP_2) | instid1(VALU_DEP_3)
	v_add_co_u32 v3, vcc_lo, s20, v3
	s_wait_alu 0xfffd
	v_add_co_ci_u32_e64 v4, null, s21, v4, vcc_lo
	v_cmp_le_i64_e32 vcc_lo, s[12:13], v[0:1]
	v_add_co_u32 v5, s0, s22, v5
	s_wait_alu 0xf1ff
	v_add_co_ci_u32_e64 v6, null, s23, v6, s0
	global_store_b16 v[3:4], v10, off
	global_store_b64 v[5:6], v[7:8], off
	s_or_b32 s17, vcc_lo, s17
	s_wait_alu 0xfffe
	s_and_not1_b32 exec_lo, exec_lo, s17
	s_cbranch_execz .LBB15_27
.LBB15_4:                               ; =>This Loop Header: Depth=1
                                        ;     Child Loop BB15_23 Depth 2
                                        ;       Child Loop BB15_25 Depth 3
	v_or_b32_e32 v3, s27, v1
                                        ; implicit-def: $vgpr6_vgpr7
	s_mov_b32 s0, exec_lo
	s_delay_alu instid0(VALU_DEP_1)
	v_cmpx_ne_u64_e32 0, v[2:3]
	s_wait_alu 0xfffe
	s_xor_b32 s1, exec_lo, s0
	s_cbranch_execz .LBB15_6
; %bb.5:                                ;   in Loop: Header=BB15_4 Depth=1
	s_mov_b32 s37, s36
	v_ashrrev_i32_e32 v9, 31, v1
	s_wait_alu 0xfffe
	s_add_nc_u64 s[38:39], s[26:27], s[36:37]
	s_wait_alu 0xfffe
	s_xor_b64 s[38:39], s[38:39], s[36:37]
	v_add_co_u32 v3, vcc_lo, v0, v9
	s_wait_alu 0xfffe
	s_cvt_f32_u32 s0, s38
	s_cvt_f32_u32 s2, s39
	s_sub_nc_u64 s[52:53], 0, s[38:39]
	s_wait_alu 0xfffd
	v_add_co_ci_u32_e64 v4, null, v1, v9, vcc_lo
	s_wait_alu 0xfffe
	s_fmamk_f32 s0, s2, 0x4f800000, s0
	v_xor_b32_e32 v10, v3, v9
	s_delay_alu instid0(VALU_DEP_2) | instskip(SKIP_2) | instid1(TRANS32_DEP_1)
	v_xor_b32_e32 v11, v4, v9
	s_wait_alu 0xfffe
	v_s_rcp_f32 s0, s0
	s_mul_f32 s0, s0, 0x5f7ffffc
	s_wait_alu 0xfffe
	s_delay_alu instid0(SALU_CYCLE_2) | instskip(SKIP_1) | instid1(SALU_CYCLE_2)
	s_mul_f32 s2, s0, 0x2f800000
	s_wait_alu 0xfffe
	s_trunc_f32 s2, s2
	s_wait_alu 0xfffe
	s_delay_alu instid0(SALU_CYCLE_2) | instskip(SKIP_2) | instid1(SALU_CYCLE_1)
	s_fmamk_f32 s0, s2, 0xcf800000, s0
	s_cvt_u32_f32 s41, s2
	s_wait_alu 0xfffe
	s_cvt_u32_f32 s40, s0
	s_wait_alu 0xfffe
	s_delay_alu instid0(SALU_CYCLE_2) | instskip(NEXT) | instid1(SALU_CYCLE_1)
	s_mul_u64 s[54:55], s[52:53], s[40:41]
	s_mul_hi_u32 s57, s40, s55
	s_mul_i32 s56, s40, s55
	s_mul_hi_u32 s2, s40, s54
	s_mul_i32 s37, s41, s54
	s_wait_alu 0xfffe
	s_add_nc_u64 s[56:57], s[2:3], s[56:57]
	s_mul_hi_u32 s0, s41, s54
	s_mul_hi_u32 s58, s41, s55
	s_add_co_u32 s2, s56, s37
	s_wait_alu 0xfffe
	s_add_co_ci_u32 s2, s57, s0
	s_mul_i32 s54, s41, s55
	s_add_co_ci_u32 s55, s58, 0
	s_wait_alu 0xfffe
	s_add_nc_u64 s[54:55], s[2:3], s[54:55]
	s_delay_alu instid0(SALU_CYCLE_1)
	s_add_co_u32 s40, s40, s54
	s_cselect_b32 s0, -1, 0
	s_wait_alu 0xfffe
	s_cmp_lg_u32 s0, 0
	s_add_co_ci_u32 s41, s41, s55
	s_wait_alu 0xfffe
	s_mul_u64 s[52:53], s[52:53], s[40:41]
	s_delay_alu instid0(SALU_CYCLE_1)
	s_mul_hi_u32 s55, s40, s53
	s_mul_i32 s54, s40, s53
	s_mul_hi_u32 s2, s40, s52
	s_mul_i32 s37, s41, s52
	s_wait_alu 0xfffe
	s_add_nc_u64 s[54:55], s[2:3], s[54:55]
	s_mul_hi_u32 s0, s41, s52
	s_mul_hi_u32 s56, s41, s53
	s_add_co_u32 s2, s54, s37
	s_wait_alu 0xfffe
	s_add_co_ci_u32 s2, s55, s0
	s_mul_i32 s52, s41, s53
	s_add_co_ci_u32 s53, s56, 0
	s_wait_alu 0xfffe
	s_add_nc_u64 s[52:53], s[2:3], s[52:53]
	s_delay_alu instid0(SALU_CYCLE_1)
	s_add_co_u32 s0, s40, s52
	s_cselect_b32 s2, -1, 0
	s_wait_alu 0xfffe
	v_mul_hi_u32 v12, v10, s0
	s_cmp_lg_u32 s2, 0
	v_mad_co_u64_u32 v[5:6], null, v11, s0, 0
	s_add_co_ci_u32 s2, s41, s53
	s_wait_alu 0xfffe
	v_mad_co_u64_u32 v[3:4], null, v10, s2, 0
	v_mad_co_u64_u32 v[7:8], null, v11, s2, 0
	s_delay_alu instid0(VALU_DEP_2) | instskip(SKIP_1) | instid1(VALU_DEP_3)
	v_add_co_u32 v3, vcc_lo, v12, v3
	s_wait_alu 0xfffd
	v_add_co_ci_u32_e64 v4, null, 0, v4, vcc_lo
	s_delay_alu instid0(VALU_DEP_2) | instskip(SKIP_1) | instid1(VALU_DEP_2)
	v_add_co_u32 v3, vcc_lo, v3, v5
	s_wait_alu 0xfffd
	v_add_co_ci_u32_e32 v3, vcc_lo, v4, v6, vcc_lo
	s_wait_alu 0xfffd
	v_add_co_ci_u32_e32 v4, vcc_lo, 0, v8, vcc_lo
	s_delay_alu instid0(VALU_DEP_2) | instskip(SKIP_1) | instid1(VALU_DEP_2)
	v_add_co_u32 v5, vcc_lo, v3, v7
	s_wait_alu 0xfffd
	v_add_co_ci_u32_e64 v6, null, 0, v4, vcc_lo
	s_delay_alu instid0(VALU_DEP_2) | instskip(SKIP_1) | instid1(VALU_DEP_3)
	v_mul_lo_u32 v7, s39, v5
	v_mad_co_u64_u32 v[3:4], null, s38, v5, 0
	v_mul_lo_u32 v8, s38, v6
	s_delay_alu instid0(VALU_DEP_2) | instskip(NEXT) | instid1(VALU_DEP_2)
	v_sub_co_u32 v3, vcc_lo, v10, v3
	v_add3_u32 v4, v4, v8, v7
	v_add_co_u32 v8, s0, v5, 2
	s_wait_alu 0xf1ff
	v_add_co_ci_u32_e64 v10, null, 0, v6, s0
	s_delay_alu instid0(VALU_DEP_3) | instskip(SKIP_3) | instid1(VALU_DEP_3)
	v_sub_nc_u32_e32 v7, v11, v4
	v_sub_co_u32 v12, s0, v3, s38
	s_wait_alu 0xfffd
	v_sub_co_ci_u32_e64 v4, null, v11, v4, vcc_lo
	v_subrev_co_ci_u32_e64 v7, null, s39, v7, vcc_lo
	s_delay_alu instid0(VALU_DEP_3) | instskip(SKIP_1) | instid1(VALU_DEP_2)
	v_cmp_le_u32_e32 vcc_lo, s38, v12
	s_wait_alu 0xf1ff
	v_subrev_co_ci_u32_e64 v7, null, 0, v7, s0
	s_wait_alu 0xfffd
	v_cndmask_b32_e64 v11, 0, -1, vcc_lo
	s_delay_alu instid0(VALU_DEP_2)
	v_cmp_le_u32_e32 vcc_lo, s39, v7
	s_wait_alu 0xfffd
	v_cndmask_b32_e64 v12, 0, -1, vcc_lo
	v_cmp_le_u32_e32 vcc_lo, s38, v3
	s_wait_alu 0xfffd
	v_cndmask_b32_e64 v3, 0, -1, vcc_lo
	v_cmp_le_u32_e32 vcc_lo, s39, v4
	s_wait_alu 0xfffd
	v_cndmask_b32_e64 v13, 0, -1, vcc_lo
	v_cmp_eq_u32_e32 vcc_lo, s39, v7
	s_wait_alu 0xfffd
	v_cndmask_b32_e32 v7, v12, v11, vcc_lo
	v_add_co_u32 v11, vcc_lo, v5, 1
	s_wait_alu 0xfffd
	v_add_co_ci_u32_e64 v12, null, 0, v6, vcc_lo
	v_cmp_eq_u32_e32 vcc_lo, s39, v4
	s_wait_alu 0xfffd
	v_cndmask_b32_e32 v3, v13, v3, vcc_lo
	v_cmp_ne_u32_e32 vcc_lo, 0, v7
	v_xor_b32_e32 v7, s36, v9
	s_wait_alu 0xfffd
	v_cndmask_b32_e32 v4, v12, v10, vcc_lo
	v_cmp_ne_u32_e64 s0, 0, v3
	v_cndmask_b32_e32 v3, v11, v8, vcc_lo
	s_wait_alu 0xf1ff
	s_delay_alu instid0(VALU_DEP_2) | instskip(NEXT) | instid1(VALU_DEP_2)
	v_cndmask_b32_e64 v4, v6, v4, s0
	v_cndmask_b32_e64 v3, v5, v3, s0
	s_delay_alu instid0(VALU_DEP_2) | instskip(NEXT) | instid1(VALU_DEP_2)
	v_xor_b32_e32 v4, v4, v7
	v_xor_b32_e32 v3, v3, v7
	s_delay_alu instid0(VALU_DEP_1) | instskip(SKIP_1) | instid1(VALU_DEP_3)
	v_sub_co_u32 v6, vcc_lo, v3, v7
	s_wait_alu 0xfffd
	v_sub_co_ci_u32_e64 v7, null, v4, v7, vcc_lo
.LBB15_6:                               ;   in Loop: Header=BB15_4 Depth=1
	s_wait_alu 0xfffe
	s_and_not1_saveexec_b32 s0, s1
	s_cbranch_execz .LBB15_8
; %bb.7:                                ;   in Loop: Header=BB15_4 Depth=1
	s_sub_co_i32 s1, 0, s26
	v_mov_b32_e32 v7, v2
	s_wait_alu 0xfffe
	v_mul_lo_u32 v3, s1, v15
	s_delay_alu instid0(VALU_DEP_1) | instskip(NEXT) | instid1(VALU_DEP_1)
	v_mul_hi_u32 v3, v15, v3
	v_add_nc_u32_e32 v3, v15, v3
	s_delay_alu instid0(VALU_DEP_1) | instskip(NEXT) | instid1(VALU_DEP_1)
	v_mul_hi_u32 v3, v0, v3
	v_mul_lo_u32 v4, v3, s26
	v_add_nc_u32_e32 v5, 1, v3
	s_delay_alu instid0(VALU_DEP_2) | instskip(NEXT) | instid1(VALU_DEP_1)
	v_sub_nc_u32_e32 v4, v0, v4
	v_subrev_nc_u32_e32 v6, s26, v4
	v_cmp_le_u32_e32 vcc_lo, s26, v4
	s_wait_alu 0xfffd
	s_delay_alu instid0(VALU_DEP_2) | instskip(NEXT) | instid1(VALU_DEP_1)
	v_dual_cndmask_b32 v4, v4, v6 :: v_dual_cndmask_b32 v3, v3, v5
	v_cmp_le_u32_e32 vcc_lo, s26, v4
	s_delay_alu instid0(VALU_DEP_2) | instskip(SKIP_1) | instid1(VALU_DEP_1)
	v_add_nc_u32_e32 v5, 1, v3
	s_wait_alu 0xfffd
	v_cndmask_b32_e32 v6, v3, v5, vcc_lo
.LBB15_8:                               ;   in Loop: Header=BB15_4 Depth=1
	s_wait_alu 0xfffe
	s_or_b32 exec_lo, exec_lo, s0
	v_or_b32_e32 v3, s5, v7
                                        ; implicit-def: $vgpr4_vgpr5
	s_mov_b32 s0, exec_lo
	s_delay_alu instid0(VALU_DEP_1)
	v_cmpx_ne_u64_e32 0, v[2:3]
	s_wait_alu 0xfffe
	s_xor_b32 s1, exec_lo, s0
	s_cbranch_execz .LBB15_10
; %bb.9:                                ;   in Loop: Header=BB15_4 Depth=1
	s_ashr_i32 s38, s5, 31
	v_ashrrev_i32_e32 v5, 31, v7
	s_wait_alu 0xfffe
	s_mov_b32 s39, s38
	s_wait_alu 0xfffe
	s_add_nc_u64 s[40:41], s[4:5], s[38:39]
	v_add_co_u32 v3, vcc_lo, v6, v5
	s_wait_alu 0xfffe
	s_xor_b64 s[40:41], s[40:41], s[38:39]
	s_wait_alu 0xfffd
	v_add_co_ci_u32_e64 v4, null, v7, v5, vcc_lo
	s_wait_alu 0xfffe
	s_cvt_f32_u32 s0, s40
	s_cvt_f32_u32 s2, s41
	s_sub_nc_u64 s[54:55], 0, s[40:41]
	v_xor_b32_e32 v12, v3, v5
	v_xor_b32_e32 v13, v4, v5
	s_wait_alu 0xfffe
	s_fmamk_f32 s0, s2, 0x4f800000, s0
	v_xor_b32_e32 v5, s38, v5
	s_wait_alu 0xfffe
	s_delay_alu instid0(SALU_CYCLE_1) | instskip(NEXT) | instid1(TRANS32_DEP_1)
	v_s_rcp_f32 s0, s0
	s_mul_f32 s0, s0, 0x5f7ffffc
	s_wait_alu 0xfffe
	s_delay_alu instid0(SALU_CYCLE_2) | instskip(SKIP_1) | instid1(SALU_CYCLE_2)
	s_mul_f32 s2, s0, 0x2f800000
	s_wait_alu 0xfffe
	s_trunc_f32 s2, s2
	s_wait_alu 0xfffe
	s_delay_alu instid0(SALU_CYCLE_2) | instskip(SKIP_2) | instid1(SALU_CYCLE_1)
	s_fmamk_f32 s0, s2, 0xcf800000, s0
	s_cvt_u32_f32 s53, s2
	s_wait_alu 0xfffe
	s_cvt_u32_f32 s52, s0
	s_delay_alu instid0(SALU_CYCLE_3) | instskip(NEXT) | instid1(SALU_CYCLE_1)
	s_mul_u64 s[56:57], s[54:55], s[52:53]
	s_mul_hi_u32 s59, s52, s57
	s_mul_i32 s58, s52, s57
	s_mul_hi_u32 s2, s52, s56
	s_mul_i32 s37, s53, s56
	s_wait_alu 0xfffe
	s_add_nc_u64 s[58:59], s[2:3], s[58:59]
	s_mul_hi_u32 s0, s53, s56
	s_mul_hi_u32 s39, s53, s57
	s_add_co_u32 s2, s58, s37
	s_wait_alu 0xfffe
	s_add_co_ci_u32 s2, s59, s0
	s_mul_i32 s56, s53, s57
	s_add_co_ci_u32 s57, s39, 0
	s_wait_alu 0xfffe
	s_add_nc_u64 s[56:57], s[2:3], s[56:57]
	s_delay_alu instid0(SALU_CYCLE_1) | instskip(SKIP_4) | instid1(SALU_CYCLE_1)
	s_add_co_u32 s52, s52, s56
	s_cselect_b32 s0, -1, 0
	s_wait_alu 0xfffe
	s_cmp_lg_u32 s0, 0
	s_add_co_ci_u32 s53, s53, s57
	s_mul_u64 s[54:55], s[54:55], s[52:53]
	s_delay_alu instid0(SALU_CYCLE_1)
	s_mul_hi_u32 s57, s52, s55
	s_mul_i32 s56, s52, s55
	s_mul_hi_u32 s2, s52, s54
	s_mul_i32 s37, s53, s54
	s_wait_alu 0xfffe
	s_add_nc_u64 s[56:57], s[2:3], s[56:57]
	s_mul_hi_u32 s0, s53, s54
	s_mul_hi_u32 s39, s53, s55
	s_add_co_u32 s2, s56, s37
	s_wait_alu 0xfffe
	s_add_co_ci_u32 s2, s57, s0
	s_mul_i32 s54, s53, s55
	s_add_co_ci_u32 s55, s39, 0
	s_wait_alu 0xfffe
	s_add_nc_u64 s[54:55], s[2:3], s[54:55]
	s_delay_alu instid0(SALU_CYCLE_1)
	s_add_co_u32 s0, s52, s54
	s_cselect_b32 s2, -1, 0
	s_wait_alu 0xfffe
	v_mul_hi_u32 v14, v12, s0
	s_cmp_lg_u32 s2, 0
	v_mad_co_u64_u32 v[8:9], null, v13, s0, 0
	s_add_co_ci_u32 s2, s53, s55
	s_wait_alu 0xfffe
	v_mad_co_u64_u32 v[3:4], null, v12, s2, 0
	v_mad_co_u64_u32 v[10:11], null, v13, s2, 0
	s_delay_alu instid0(VALU_DEP_2) | instskip(SKIP_1) | instid1(VALU_DEP_3)
	v_add_co_u32 v3, vcc_lo, v14, v3
	s_wait_alu 0xfffd
	v_add_co_ci_u32_e64 v4, null, 0, v4, vcc_lo
	s_delay_alu instid0(VALU_DEP_2) | instskip(SKIP_1) | instid1(VALU_DEP_2)
	v_add_co_u32 v3, vcc_lo, v3, v8
	s_wait_alu 0xfffd
	v_add_co_ci_u32_e32 v3, vcc_lo, v4, v9, vcc_lo
	s_wait_alu 0xfffd
	v_add_co_ci_u32_e32 v4, vcc_lo, 0, v11, vcc_lo
	s_delay_alu instid0(VALU_DEP_2) | instskip(SKIP_1) | instid1(VALU_DEP_2)
	v_add_co_u32 v8, vcc_lo, v3, v10
	s_wait_alu 0xfffd
	v_add_co_ci_u32_e64 v9, null, 0, v4, vcc_lo
	s_delay_alu instid0(VALU_DEP_2) | instskip(SKIP_1) | instid1(VALU_DEP_3)
	v_mul_lo_u32 v10, s41, v8
	v_mad_co_u64_u32 v[3:4], null, s40, v8, 0
	v_mul_lo_u32 v11, s40, v9
	s_delay_alu instid0(VALU_DEP_2) | instskip(NEXT) | instid1(VALU_DEP_2)
	v_sub_co_u32 v3, vcc_lo, v12, v3
	v_add3_u32 v4, v4, v11, v10
	v_add_co_u32 v11, s0, v8, 2
	s_wait_alu 0xf1ff
	v_add_co_ci_u32_e64 v12, null, 0, v9, s0
	s_delay_alu instid0(VALU_DEP_3) | instskip(SKIP_3) | instid1(VALU_DEP_3)
	v_sub_nc_u32_e32 v10, v13, v4
	v_sub_co_u32 v14, s0, v3, s40
	s_wait_alu 0xfffd
	v_sub_co_ci_u32_e64 v4, null, v13, v4, vcc_lo
	v_subrev_co_ci_u32_e64 v10, null, s41, v10, vcc_lo
	s_delay_alu instid0(VALU_DEP_3) | instskip(SKIP_1) | instid1(VALU_DEP_2)
	v_cmp_le_u32_e32 vcc_lo, s40, v14
	s_wait_alu 0xf1ff
	v_subrev_co_ci_u32_e64 v10, null, 0, v10, s0
	s_wait_alu 0xfffd
	v_cndmask_b32_e64 v13, 0, -1, vcc_lo
	s_delay_alu instid0(VALU_DEP_2)
	v_cmp_le_u32_e32 vcc_lo, s41, v10
	s_wait_alu 0xfffd
	v_cndmask_b32_e64 v14, 0, -1, vcc_lo
	v_cmp_le_u32_e32 vcc_lo, s40, v3
	s_wait_alu 0xfffd
	v_cndmask_b32_e64 v3, 0, -1, vcc_lo
	;; [unrolled: 3-line block ×3, first 2 shown]
	v_cmp_eq_u32_e32 vcc_lo, s41, v10
	s_wait_alu 0xfffd
	v_cndmask_b32_e32 v10, v14, v13, vcc_lo
	v_add_co_u32 v13, vcc_lo, v8, 1
	s_wait_alu 0xfffd
	v_add_co_ci_u32_e64 v14, null, 0, v9, vcc_lo
	v_cmp_eq_u32_e32 vcc_lo, s41, v4
	s_wait_alu 0xfffd
	v_cndmask_b32_e32 v3, v17, v3, vcc_lo
	v_cmp_ne_u32_e32 vcc_lo, 0, v10
	s_delay_alu instid0(VALU_DEP_2) | instskip(SKIP_3) | instid1(VALU_DEP_1)
	v_cmp_ne_u32_e64 s0, 0, v3
	s_wait_alu 0xfffd
	v_dual_cndmask_b32 v4, v14, v12 :: v_dual_cndmask_b32 v3, v13, v11
	s_wait_alu 0xf1ff
	v_cndmask_b32_e64 v4, v9, v4, s0
	s_delay_alu instid0(VALU_DEP_2) | instskip(NEXT) | instid1(VALU_DEP_2)
	v_cndmask_b32_e64 v3, v8, v3, s0
	v_xor_b32_e32 v8, v4, v5
	s_delay_alu instid0(VALU_DEP_2) | instskip(NEXT) | instid1(VALU_DEP_1)
	v_xor_b32_e32 v3, v3, v5
	v_sub_co_u32 v4, vcc_lo, v3, v5
	s_wait_alu 0xfffd
	s_delay_alu instid0(VALU_DEP_3)
	v_sub_co_ci_u32_e64 v5, null, v8, v5, vcc_lo
.LBB15_10:                              ;   in Loop: Header=BB15_4 Depth=1
	s_wait_alu 0xfffe
	s_and_not1_saveexec_b32 s0, s1
	s_cbranch_execz .LBB15_12
; %bb.11:                               ;   in Loop: Header=BB15_4 Depth=1
	s_sub_co_i32 s1, 0, s4
	s_wait_alu 0xfffe
	v_mul_lo_u32 v3, s1, v16
	s_delay_alu instid0(VALU_DEP_1) | instskip(NEXT) | instid1(VALU_DEP_1)
	v_mul_hi_u32 v3, v16, v3
	v_add_nc_u32_e32 v3, v16, v3
	s_delay_alu instid0(VALU_DEP_1) | instskip(NEXT) | instid1(VALU_DEP_1)
	v_mul_hi_u32 v3, v6, v3
	v_mul_lo_u32 v4, v3, s4
	s_delay_alu instid0(VALU_DEP_1) | instskip(NEXT) | instid1(VALU_DEP_1)
	v_sub_nc_u32_e32 v4, v6, v4
	v_subrev_nc_u32_e32 v8, s4, v4
	v_cmp_le_u32_e32 vcc_lo, s4, v4
	s_wait_alu 0xfffd
	s_delay_alu instid0(VALU_DEP_2) | instskip(NEXT) | instid1(VALU_DEP_1)
	v_dual_cndmask_b32 v4, v4, v8 :: v_dual_add_nc_u32 v5, 1, v3
	v_cndmask_b32_e32 v3, v3, v5, vcc_lo
	s_delay_alu instid0(VALU_DEP_2) | instskip(NEXT) | instid1(VALU_DEP_2)
	v_cmp_le_u32_e32 vcc_lo, s4, v4
	v_add_nc_u32_e32 v5, 1, v3
	s_wait_alu 0xfffd
	s_delay_alu instid0(VALU_DEP_1)
	v_dual_cndmask_b32 v4, v3, v5 :: v_dual_mov_b32 v5, v2
.LBB15_12:                              ;   in Loop: Header=BB15_4 Depth=1
	s_wait_alu 0xfffe
	s_or_b32 exec_lo, exec_lo, s0
	s_delay_alu instid0(VALU_DEP_1) | instskip(NEXT) | instid1(VALU_DEP_2)
	v_mul_lo_u32 v3, v5, s4
	v_mul_lo_u32 v10, v4, s5
	v_mad_co_u64_u32 v[8:9], null, v4, s4, 0
	s_mov_b32 s0, exec_lo
	v_add3_u32 v3, v9, v10, v3
	v_sub_co_u32 v8, vcc_lo, v6, v8
	s_wait_alu 0xfffd
	s_delay_alu instid0(VALU_DEP_2) | instskip(NEXT) | instid1(VALU_DEP_2)
	v_sub_co_ci_u32_e64 v3, null, v7, v3, vcc_lo
	v_mul_lo_u32 v9, v8, s33
	v_mad_co_u64_u32 v[10:11], null, v8, s42, 0
	s_delay_alu instid0(VALU_DEP_3) | instskip(NEXT) | instid1(VALU_DEP_2)
	v_mul_lo_u32 v3, v3, s42
	v_sub_co_u32 v8, vcc_lo, v10, s44
	s_delay_alu instid0(VALU_DEP_2) | instskip(SKIP_1) | instid1(VALU_DEP_1)
	v_add3_u32 v11, v11, v9, v3
	s_wait_alu 0xfffd
	v_subrev_co_ci_u32_e64 v9, null, s43, v11, vcc_lo
	s_delay_alu instid0(VALU_DEP_1) | instskip(SKIP_2) | instid1(VALU_DEP_1)
	v_cmp_lt_i64_e32 vcc_lo, 0, v[8:9]
	s_wait_alu 0xfffd
	v_dual_cndmask_b32 v3, 0, v9 :: v_dual_cndmask_b32 v12, 0, v8
	v_add_co_u32 v12, vcc_lo, v12, s44
	s_wait_alu 0xfffd
	s_delay_alu instid0(VALU_DEP_2) | instskip(NEXT) | instid1(VALU_DEP_1)
	v_add_co_ci_u32_e64 v13, null, s43, v3, vcc_lo
	v_cmp_ne_u64_e32 vcc_lo, v[12:13], v[10:11]
	s_wait_alu 0xfffd
	v_cndmask_b32_e64 v14, 0, 1, vcc_lo
	s_delay_alu instid0(VALU_DEP_1) | instskip(SKIP_2) | instid1(VALU_DEP_2)
	v_add_co_u32 v3, vcc_lo, v10, v14
	s_wait_alu 0xfffd
	v_add_co_ci_u32_e64 v10, null, 0, v11, vcc_lo
	v_sub_co_u32 v12, vcc_lo, v12, v3
	s_wait_alu 0xfffd
	s_delay_alu instid0(VALU_DEP_2) | instskip(NEXT) | instid1(VALU_DEP_1)
	v_sub_co_ci_u32_e64 v13, null, v13, v10, vcc_lo
                                        ; implicit-def: $vgpr10_vgpr11
	v_or_b32_e32 v3, s11, v13
	s_delay_alu instid0(VALU_DEP_1)
	v_cmpx_ne_u64_e32 0, v[2:3]
	s_wait_alu 0xfffe
	s_xor_b32 s1, exec_lo, s0
	s_cbranch_execz .LBB15_14
; %bb.13:                               ;   in Loop: Header=BB15_4 Depth=1
	s_cvt_f32_u32 s0, s10
	s_cvt_f32_u32 s2, s11
	s_sub_nc_u64 s[40:41], 0, s[10:11]
	s_wait_alu 0xfffe
	s_delay_alu instid0(SALU_CYCLE_1) | instskip(SKIP_1) | instid1(SALU_CYCLE_2)
	s_fmamk_f32 s0, s2, 0x4f800000, s0
	s_wait_alu 0xfffe
	v_s_rcp_f32 s0, s0
	s_delay_alu instid0(TRANS32_DEP_1) | instskip(SKIP_1) | instid1(SALU_CYCLE_2)
	s_mul_f32 s0, s0, 0x5f7ffffc
	s_wait_alu 0xfffe
	s_mul_f32 s2, s0, 0x2f800000
	s_wait_alu 0xfffe
	s_delay_alu instid0(SALU_CYCLE_2) | instskip(SKIP_1) | instid1(SALU_CYCLE_2)
	s_trunc_f32 s2, s2
	s_wait_alu 0xfffe
	s_fmamk_f32 s0, s2, 0xcf800000, s0
	s_cvt_u32_f32 s39, s2
	s_wait_alu 0xfffe
	s_delay_alu instid0(SALU_CYCLE_1) | instskip(SKIP_1) | instid1(SALU_CYCLE_2)
	s_cvt_u32_f32 s38, s0
	s_wait_alu 0xfffe
	s_mul_u64 s[52:53], s[40:41], s[38:39]
	s_delay_alu instid0(SALU_CYCLE_1)
	s_mul_hi_u32 s55, s38, s53
	s_mul_i32 s54, s38, s53
	s_mul_hi_u32 s2, s38, s52
	s_mul_i32 s37, s39, s52
	s_wait_alu 0xfffe
	s_add_nc_u64 s[54:55], s[2:3], s[54:55]
	s_mul_hi_u32 s0, s39, s52
	s_mul_hi_u32 s56, s39, s53
	s_add_co_u32 s2, s54, s37
	s_wait_alu 0xfffe
	s_add_co_ci_u32 s2, s55, s0
	s_mul_i32 s52, s39, s53
	s_add_co_ci_u32 s53, s56, 0
	s_wait_alu 0xfffe
	s_add_nc_u64 s[52:53], s[2:3], s[52:53]
	s_delay_alu instid0(SALU_CYCLE_1)
	s_add_co_u32 s38, s38, s52
	s_cselect_b32 s0, -1, 0
	s_wait_alu 0xfffe
	s_cmp_lg_u32 s0, 0
	s_add_co_ci_u32 s39, s39, s53
	s_wait_alu 0xfffe
	s_mul_u64 s[40:41], s[40:41], s[38:39]
	s_wait_alu 0xfffe
	s_mul_hi_u32 s53, s38, s41
	s_mul_i32 s52, s38, s41
	s_mul_hi_u32 s2, s38, s40
	s_mul_i32 s37, s39, s40
	s_wait_alu 0xfffe
	s_add_nc_u64 s[52:53], s[2:3], s[52:53]
	s_mul_hi_u32 s0, s39, s40
	s_mul_hi_u32 s54, s39, s41
	s_add_co_u32 s2, s52, s37
	s_wait_alu 0xfffe
	s_add_co_ci_u32 s2, s53, s0
	s_mul_i32 s40, s39, s41
	s_add_co_ci_u32 s41, s54, 0
	s_wait_alu 0xfffe
	s_add_nc_u64 s[40:41], s[2:3], s[40:41]
	s_wait_alu 0xfffe
	s_add_co_u32 s0, s38, s40
	s_cselect_b32 s2, -1, 0
	s_wait_alu 0xfffe
	v_mul_hi_u32 v3, v12, s0
	s_cmp_lg_u32 s2, 0
	v_mad_co_u64_u32 v[17:18], null, v13, s0, 0
	s_add_co_ci_u32 s2, s39, s41
	s_wait_alu 0xfffe
	v_mad_co_u64_u32 v[10:11], null, v12, s2, 0
	v_mad_co_u64_u32 v[19:20], null, v13, s2, 0
	s_delay_alu instid0(VALU_DEP_2) | instskip(SKIP_1) | instid1(VALU_DEP_3)
	v_add_co_u32 v3, vcc_lo, v3, v10
	s_wait_alu 0xfffd
	v_add_co_ci_u32_e64 v10, null, 0, v11, vcc_lo
	s_delay_alu instid0(VALU_DEP_2) | instskip(SKIP_1) | instid1(VALU_DEP_2)
	v_add_co_u32 v3, vcc_lo, v3, v17
	s_wait_alu 0xfffd
	v_add_co_ci_u32_e32 v3, vcc_lo, v10, v18, vcc_lo
	s_wait_alu 0xfffd
	v_add_co_ci_u32_e32 v10, vcc_lo, 0, v20, vcc_lo
	s_delay_alu instid0(VALU_DEP_2) | instskip(SKIP_1) | instid1(VALU_DEP_2)
	v_add_co_u32 v3, vcc_lo, v3, v19
	s_wait_alu 0xfffd
	v_add_co_ci_u32_e64 v17, null, 0, v10, vcc_lo
	s_delay_alu instid0(VALU_DEP_2) | instskip(SKIP_1) | instid1(VALU_DEP_3)
	v_mul_lo_u32 v18, s11, v3
	v_mad_co_u64_u32 v[10:11], null, s10, v3, 0
	v_mul_lo_u32 v19, s10, v17
	s_delay_alu instid0(VALU_DEP_2) | instskip(NEXT) | instid1(VALU_DEP_2)
	v_sub_co_u32 v10, vcc_lo, v12, v10
	v_add3_u32 v11, v11, v19, v18
	s_delay_alu instid0(VALU_DEP_1) | instskip(SKIP_2) | instid1(VALU_DEP_2)
	v_sub_nc_u32_e32 v18, v13, v11
	s_wait_alu 0xfffd
	v_sub_co_ci_u32_e64 v11, null, v13, v11, vcc_lo
	v_subrev_co_ci_u32_e64 v12, null, s11, v18, vcc_lo
	v_add_co_u32 v18, s0, v3, 2
	s_wait_alu 0xf1ff
	v_add_co_ci_u32_e64 v19, null, 0, v17, s0
	v_sub_co_u32 v20, s0, v10, s10
	s_wait_alu 0xf1ff
	v_subrev_co_ci_u32_e64 v12, null, 0, v12, s0
	v_cmp_eq_u32_e64 s0, s11, v11
	s_delay_alu instid0(VALU_DEP_3)
	v_cmp_le_u32_e32 vcc_lo, s10, v20
	s_wait_alu 0xfffd
	v_cndmask_b32_e64 v13, 0, -1, vcc_lo
	v_cmp_le_u32_e32 vcc_lo, s11, v12
	s_wait_alu 0xfffd
	v_cndmask_b32_e64 v20, 0, -1, vcc_lo
	;; [unrolled: 3-line block ×4, first 2 shown]
	v_cmp_eq_u32_e32 vcc_lo, s11, v12
	s_wait_alu 0xf1ff
	s_delay_alu instid0(VALU_DEP_2)
	v_cndmask_b32_e64 v10, v21, v10, s0
	s_wait_alu 0xfffd
	v_cndmask_b32_e32 v12, v20, v13, vcc_lo
	v_add_co_u32 v13, vcc_lo, v3, 1
	s_wait_alu 0xfffd
	v_add_co_ci_u32_e64 v20, null, 0, v17, vcc_lo
	s_delay_alu instid0(VALU_DEP_3) | instskip(SKIP_1) | instid1(VALU_DEP_2)
	v_cmp_ne_u32_e32 vcc_lo, 0, v12
	s_wait_alu 0xfffd
	v_dual_cndmask_b32 v11, v20, v19 :: v_dual_cndmask_b32 v12, v13, v18
	v_cmp_ne_u32_e32 vcc_lo, 0, v10
	s_wait_alu 0xfffd
	s_delay_alu instid0(VALU_DEP_2)
	v_dual_cndmask_b32 v11, v17, v11 :: v_dual_cndmask_b32 v10, v3, v12
                                        ; implicit-def: $vgpr12
.LBB15_14:                              ;   in Loop: Header=BB15_4 Depth=1
	s_wait_alu 0xfffe
	s_and_not1_saveexec_b32 s0, s1
	s_cbranch_execz .LBB15_16
; %bb.15:                               ;   in Loop: Header=BB15_4 Depth=1
	v_cvt_f32_u32_e32 v3, s10
	s_sub_co_i32 s1, 0, s10
	s_delay_alu instid0(VALU_DEP_1) | instskip(NEXT) | instid1(TRANS32_DEP_1)
	v_rcp_iflag_f32_e32 v3, v3
	v_mul_f32_e32 v3, 0x4f7ffffe, v3
	s_delay_alu instid0(VALU_DEP_1) | instskip(SKIP_1) | instid1(VALU_DEP_1)
	v_cvt_u32_f32_e32 v3, v3
	s_wait_alu 0xfffe
	v_mul_lo_u32 v10, s1, v3
	s_delay_alu instid0(VALU_DEP_1) | instskip(NEXT) | instid1(VALU_DEP_1)
	v_mul_hi_u32 v10, v3, v10
	v_add_nc_u32_e32 v3, v3, v10
	s_delay_alu instid0(VALU_DEP_1) | instskip(NEXT) | instid1(VALU_DEP_1)
	v_mul_hi_u32 v3, v12, v3
	v_mul_lo_u32 v10, v3, s10
	v_add_nc_u32_e32 v11, 1, v3
	s_delay_alu instid0(VALU_DEP_2) | instskip(NEXT) | instid1(VALU_DEP_1)
	v_sub_nc_u32_e32 v10, v12, v10
	v_subrev_nc_u32_e32 v12, s10, v10
	v_cmp_le_u32_e32 vcc_lo, s10, v10
	s_wait_alu 0xfffd
	s_delay_alu instid0(VALU_DEP_2) | instskip(NEXT) | instid1(VALU_DEP_1)
	v_dual_cndmask_b32 v10, v10, v12 :: v_dual_cndmask_b32 v3, v3, v11
	v_cmp_le_u32_e32 vcc_lo, s10, v10
	s_delay_alu instid0(VALU_DEP_2) | instskip(SKIP_1) | instid1(VALU_DEP_1)
	v_add_nc_u32_e32 v11, 1, v3
	s_wait_alu 0xfffd
	v_dual_cndmask_b32 v10, v3, v11 :: v_dual_mov_b32 v11, v2
.LBB15_16:                              ;   in Loop: Header=BB15_4 Depth=1
	s_wait_alu 0xfffe
	s_or_b32 exec_lo, exec_lo, s0
	v_mul_lo_u32 v3, v7, s26
	v_mul_lo_u32 v12, v6, s27
	v_mad_co_u64_u32 v[6:7], null, v6, s26, 0
	s_mov_b32 s0, exec_lo
	v_add3_u32 v3, v7, v12, v3
	v_sub_co_u32 v6, vcc_lo, v0, v6
	s_wait_alu 0xfffd
	s_delay_alu instid0(VALU_DEP_2) | instskip(NEXT) | instid1(VALU_DEP_2)
	v_sub_co_ci_u32_e64 v3, null, v1, v3, vcc_lo
	v_mul_lo_u32 v7, v6, s45
	v_mad_co_u64_u32 v[12:13], null, v6, s46, 0
	s_delay_alu instid0(VALU_DEP_3) | instskip(NEXT) | instid1(VALU_DEP_2)
	v_mul_lo_u32 v3, v3, s46
	v_sub_co_u32 v6, vcc_lo, v12, s48
	s_delay_alu instid0(VALU_DEP_2) | instskip(SKIP_1) | instid1(VALU_DEP_1)
	v_add3_u32 v13, v13, v7, v3
	s_wait_alu 0xfffd
	v_subrev_co_ci_u32_e64 v7, null, s47, v13, vcc_lo
	s_delay_alu instid0(VALU_DEP_1) | instskip(SKIP_3) | instid1(VALU_DEP_2)
	v_cmp_lt_i64_e32 vcc_lo, 0, v[6:7]
	s_wait_alu 0xfffd
	v_cndmask_b32_e32 v17, 0, v6, vcc_lo
	v_cndmask_b32_e32 v3, 0, v7, vcc_lo
	v_add_co_u32 v18, vcc_lo, v17, s48
	s_wait_alu 0xfffd
	s_delay_alu instid0(VALU_DEP_2) | instskip(NEXT) | instid1(VALU_DEP_1)
	v_add_co_ci_u32_e64 v19, null, s47, v3, vcc_lo
	v_cmp_ne_u64_e32 vcc_lo, v[18:19], v[12:13]
	s_wait_alu 0xfffd
	v_cndmask_b32_e64 v17, 0, 1, vcc_lo
	s_delay_alu instid0(VALU_DEP_1) | instskip(SKIP_2) | instid1(VALU_DEP_2)
	v_add_co_u32 v3, vcc_lo, v12, v17
	s_wait_alu 0xfffd
	v_add_co_ci_u32_e64 v12, null, 0, v13, vcc_lo
	v_sub_co_u32 v18, vcc_lo, v18, v3
	s_wait_alu 0xfffd
	s_delay_alu instid0(VALU_DEP_2) | instskip(NEXT) | instid1(VALU_DEP_1)
	v_sub_co_ci_u32_e64 v19, null, v19, v12, vcc_lo
                                        ; implicit-def: $vgpr12_vgpr13
	v_or_b32_e32 v3, s29, v19
	s_delay_alu instid0(VALU_DEP_1)
	v_cmpx_ne_u64_e32 0, v[2:3]
	s_wait_alu 0xfffe
	s_xor_b32 s1, exec_lo, s0
	s_cbranch_execz .LBB15_18
; %bb.17:                               ;   in Loop: Header=BB15_4 Depth=1
	s_cvt_f32_u32 s0, s28
	s_cvt_f32_u32 s2, s29
	s_sub_nc_u64 s[40:41], 0, s[28:29]
	s_wait_alu 0xfffe
	s_delay_alu instid0(SALU_CYCLE_1) | instskip(SKIP_1) | instid1(SALU_CYCLE_2)
	s_fmamk_f32 s0, s2, 0x4f800000, s0
	s_wait_alu 0xfffe
	v_s_rcp_f32 s0, s0
	s_delay_alu instid0(TRANS32_DEP_1) | instskip(SKIP_1) | instid1(SALU_CYCLE_2)
	s_mul_f32 s0, s0, 0x5f7ffffc
	s_wait_alu 0xfffe
	s_mul_f32 s2, s0, 0x2f800000
	s_wait_alu 0xfffe
	s_delay_alu instid0(SALU_CYCLE_2) | instskip(SKIP_1) | instid1(SALU_CYCLE_2)
	s_trunc_f32 s2, s2
	s_wait_alu 0xfffe
	s_fmamk_f32 s0, s2, 0xcf800000, s0
	s_cvt_u32_f32 s39, s2
	s_wait_alu 0xfffe
	s_delay_alu instid0(SALU_CYCLE_1) | instskip(SKIP_1) | instid1(SALU_CYCLE_2)
	s_cvt_u32_f32 s38, s0
	s_wait_alu 0xfffe
	s_mul_u64 s[52:53], s[40:41], s[38:39]
	s_delay_alu instid0(SALU_CYCLE_1)
	s_mul_hi_u32 s55, s38, s53
	s_mul_i32 s54, s38, s53
	s_mul_hi_u32 s2, s38, s52
	s_mul_i32 s37, s39, s52
	s_wait_alu 0xfffe
	s_add_nc_u64 s[54:55], s[2:3], s[54:55]
	s_mul_hi_u32 s0, s39, s52
	s_mul_hi_u32 s56, s39, s53
	s_add_co_u32 s2, s54, s37
	s_wait_alu 0xfffe
	s_add_co_ci_u32 s2, s55, s0
	s_mul_i32 s52, s39, s53
	s_add_co_ci_u32 s53, s56, 0
	s_wait_alu 0xfffe
	s_add_nc_u64 s[52:53], s[2:3], s[52:53]
	s_delay_alu instid0(SALU_CYCLE_1)
	s_add_co_u32 s38, s38, s52
	s_cselect_b32 s0, -1, 0
	s_wait_alu 0xfffe
	s_cmp_lg_u32 s0, 0
	s_add_co_ci_u32 s39, s39, s53
	s_wait_alu 0xfffe
	s_mul_u64 s[40:41], s[40:41], s[38:39]
	s_wait_alu 0xfffe
	s_mul_hi_u32 s53, s38, s41
	s_mul_i32 s52, s38, s41
	s_mul_hi_u32 s2, s38, s40
	s_mul_i32 s37, s39, s40
	s_wait_alu 0xfffe
	s_add_nc_u64 s[52:53], s[2:3], s[52:53]
	s_mul_hi_u32 s0, s39, s40
	s_mul_hi_u32 s54, s39, s41
	s_add_co_u32 s2, s52, s37
	s_wait_alu 0xfffe
	s_add_co_ci_u32 s2, s53, s0
	s_mul_i32 s40, s39, s41
	s_add_co_ci_u32 s41, s54, 0
	s_wait_alu 0xfffe
	s_add_nc_u64 s[40:41], s[2:3], s[40:41]
	s_wait_alu 0xfffe
	s_add_co_u32 s0, s38, s40
	s_cselect_b32 s2, -1, 0
	s_wait_alu 0xfffe
	v_mul_hi_u32 v3, v18, s0
	s_cmp_lg_u32 s2, 0
	v_mad_co_u64_u32 v[20:21], null, v19, s0, 0
	s_add_co_ci_u32 s2, s39, s41
	s_wait_alu 0xfffe
	v_mad_co_u64_u32 v[12:13], null, v18, s2, 0
	v_mad_co_u64_u32 v[22:23], null, v19, s2, 0
	s_delay_alu instid0(VALU_DEP_2) | instskip(SKIP_1) | instid1(VALU_DEP_3)
	v_add_co_u32 v3, vcc_lo, v3, v12
	s_wait_alu 0xfffd
	v_add_co_ci_u32_e64 v12, null, 0, v13, vcc_lo
	s_delay_alu instid0(VALU_DEP_2) | instskip(SKIP_1) | instid1(VALU_DEP_2)
	v_add_co_u32 v3, vcc_lo, v3, v20
	s_wait_alu 0xfffd
	v_add_co_ci_u32_e32 v3, vcc_lo, v12, v21, vcc_lo
	s_wait_alu 0xfffd
	v_add_co_ci_u32_e32 v12, vcc_lo, 0, v23, vcc_lo
	s_delay_alu instid0(VALU_DEP_2) | instskip(SKIP_1) | instid1(VALU_DEP_2)
	v_add_co_u32 v3, vcc_lo, v3, v22
	s_wait_alu 0xfffd
	v_add_co_ci_u32_e64 v20, null, 0, v12, vcc_lo
	s_delay_alu instid0(VALU_DEP_2) | instskip(SKIP_1) | instid1(VALU_DEP_3)
	v_mul_lo_u32 v21, s29, v3
	v_mad_co_u64_u32 v[12:13], null, s28, v3, 0
	v_mul_lo_u32 v22, s28, v20
	s_delay_alu instid0(VALU_DEP_2) | instskip(NEXT) | instid1(VALU_DEP_2)
	v_sub_co_u32 v12, vcc_lo, v18, v12
	v_add3_u32 v13, v13, v22, v21
	s_delay_alu instid0(VALU_DEP_1) | instskip(SKIP_2) | instid1(VALU_DEP_2)
	v_sub_nc_u32_e32 v21, v19, v13
	s_wait_alu 0xfffd
	v_sub_co_ci_u32_e64 v13, null, v19, v13, vcc_lo
	v_subrev_co_ci_u32_e64 v18, null, s29, v21, vcc_lo
	v_add_co_u32 v21, s0, v3, 2
	s_wait_alu 0xf1ff
	v_add_co_ci_u32_e64 v22, null, 0, v20, s0
	v_sub_co_u32 v23, s0, v12, s28
	s_wait_alu 0xf1ff
	v_subrev_co_ci_u32_e64 v18, null, 0, v18, s0
	v_cmp_eq_u32_e64 s0, s29, v13
	s_delay_alu instid0(VALU_DEP_3)
	v_cmp_le_u32_e32 vcc_lo, s28, v23
	s_wait_alu 0xfffd
	v_cndmask_b32_e64 v19, 0, -1, vcc_lo
	v_cmp_le_u32_e32 vcc_lo, s29, v18
	s_wait_alu 0xfffd
	v_cndmask_b32_e64 v23, 0, -1, vcc_lo
	;; [unrolled: 3-line block ×4, first 2 shown]
	v_cmp_eq_u32_e32 vcc_lo, s29, v18
	s_wait_alu 0xf1ff
	s_delay_alu instid0(VALU_DEP_2)
	v_cndmask_b32_e64 v12, v24, v12, s0
	s_wait_alu 0xfffd
	v_cndmask_b32_e32 v18, v23, v19, vcc_lo
	v_add_co_u32 v19, vcc_lo, v3, 1
	s_wait_alu 0xfffd
	v_add_co_ci_u32_e64 v23, null, 0, v20, vcc_lo
	s_delay_alu instid0(VALU_DEP_3) | instskip(SKIP_1) | instid1(VALU_DEP_2)
	v_cmp_ne_u32_e32 vcc_lo, 0, v18
	s_wait_alu 0xfffd
	v_cndmask_b32_e32 v13, v23, v22, vcc_lo
	v_cndmask_b32_e32 v18, v19, v21, vcc_lo
	v_cmp_ne_u32_e32 vcc_lo, 0, v12
	s_wait_alu 0xfffd
	s_delay_alu instid0(VALU_DEP_2)
	v_dual_cndmask_b32 v13, v20, v13 :: v_dual_cndmask_b32 v12, v3, v18
                                        ; implicit-def: $vgpr18
.LBB15_18:                              ;   in Loop: Header=BB15_4 Depth=1
	s_wait_alu 0xfffe
	s_and_not1_saveexec_b32 s0, s1
	s_cbranch_execz .LBB15_20
; %bb.19:                               ;   in Loop: Header=BB15_4 Depth=1
	v_cvt_f32_u32_e32 v3, s28
	s_sub_co_i32 s1, 0, s28
	s_delay_alu instid0(VALU_DEP_1) | instskip(NEXT) | instid1(TRANS32_DEP_1)
	v_rcp_iflag_f32_e32 v3, v3
	v_mul_f32_e32 v3, 0x4f7ffffe, v3
	s_delay_alu instid0(VALU_DEP_1) | instskip(SKIP_1) | instid1(VALU_DEP_1)
	v_cvt_u32_f32_e32 v3, v3
	s_wait_alu 0xfffe
	v_mul_lo_u32 v12, s1, v3
	s_delay_alu instid0(VALU_DEP_1) | instskip(NEXT) | instid1(VALU_DEP_1)
	v_mul_hi_u32 v12, v3, v12
	v_add_nc_u32_e32 v3, v3, v12
	s_delay_alu instid0(VALU_DEP_1) | instskip(NEXT) | instid1(VALU_DEP_1)
	v_mul_hi_u32 v3, v18, v3
	v_mul_lo_u32 v12, v3, s28
	v_add_nc_u32_e32 v13, 1, v3
	s_delay_alu instid0(VALU_DEP_2) | instskip(NEXT) | instid1(VALU_DEP_1)
	v_sub_nc_u32_e32 v12, v18, v12
	v_subrev_nc_u32_e32 v18, s28, v12
	v_cmp_le_u32_e32 vcc_lo, s28, v12
	s_wait_alu 0xfffd
	s_delay_alu instid0(VALU_DEP_2) | instskip(NEXT) | instid1(VALU_DEP_1)
	v_dual_cndmask_b32 v12, v12, v18 :: v_dual_cndmask_b32 v3, v3, v13
	v_cmp_le_u32_e32 vcc_lo, s28, v12
	s_delay_alu instid0(VALU_DEP_2) | instskip(SKIP_1) | instid1(VALU_DEP_1)
	v_add_nc_u32_e32 v13, 1, v3
	s_wait_alu 0xfffd
	v_dual_cndmask_b32 v12, v3, v13 :: v_dual_mov_b32 v13, v2
.LBB15_20:                              ;   in Loop: Header=BB15_4 Depth=1
	s_wait_alu 0xfffe
	s_or_b32 exec_lo, exec_lo, s0
	v_add_co_u32 v3, vcc_lo, v10, v14
	s_wait_alu 0xfffd
	v_add_co_ci_u32_e64 v10, null, 0, v11, vcc_lo
	v_add_co_u32 v11, vcc_lo, v12, v17
	s_wait_alu 0xfffd
	v_add_co_ci_u32_e64 v12, null, 0, v13, vcc_lo
	v_mul_lo_u32 v14, v3, s7
	v_mul_lo_u32 v13, v10, s6
	v_mad_co_u64_u32 v[9:10], null, v3, s6, v[8:9]
	v_mul_lo_u32 v3, v11, s9
	v_mul_lo_u32 v17, v12, s8
	v_mad_co_u64_u32 v[11:12], null, v11, s8, v[6:7]
	s_mov_b32 s37, exec_lo
	v_add3_u32 v7, v13, v10, v14
	v_add3_u32 v12, v17, v12, v3
	v_add_nc_u32_e32 v3, s49, v8
	s_delay_alu instid0(VALU_DEP_3) | instskip(NEXT) | instid1(VALU_DEP_3)
	v_mul_lo_u32 v10, v7, s18
	v_mad_co_u64_u32 v[7:8], null, v9, s18, v[11:12]
	v_mul_lo_u32 v12, v9, s19
	s_delay_alu instid0(VALU_DEP_1) | instskip(SKIP_2) | instid1(VALU_DEP_1)
	v_add3_u32 v8, v10, v8, v12
	v_mov_b32_e32 v10, 0xffffff80
	v_min_i32_e32 v17, s16, v3
	v_cmpx_gt_i32_e64 v17, v9
	s_cbranch_execz .LBB15_3
; %bb.21:                               ;   in Loop: Header=BB15_4 Depth=1
	v_mad_co_u64_u32 v[13:14], null, s30, v4, s[14:15]
	v_mul_lo_u32 v5, s30, v5
	v_mul_lo_u32 v4, s31, v4
	v_dual_mov_b32 v10, 0xffffff80 :: v_dual_add_nc_u32 v3, s50, v6
	s_mov_b32 s38, 0
	s_delay_alu instid0(VALU_DEP_1) | instskip(SKIP_1) | instid1(VALU_DEP_4)
	v_min_i32_e32 v18, s18, v3
	v_ashrrev_i32_e32 v3, 31, v9
	v_add3_u32 v14, v4, v14, v5
	s_delay_alu instid0(VALU_DEP_3)
	v_cmp_gt_i32_e32 vcc_lo, v18, v11
	s_branch .LBB15_23
.LBB15_22:                              ;   in Loop: Header=BB15_23 Depth=2
	s_wait_alu 0xfffe
	s_or_b32 exec_lo, exec_lo, s39
	v_add_nc_u32_e32 v9, s24, v9
	s_delay_alu instid0(VALU_DEP_1)
	v_cmp_ge_i32_e64 s0, v9, v17
	v_ashrrev_i32_e32 v3, 31, v9
	s_or_b32 s38, s0, s38
	s_wait_alu 0xfffe
	s_and_not1_b32 exec_lo, exec_lo, s38
	s_cbranch_execz .LBB15_2
.LBB15_23:                              ;   Parent Loop BB15_4 Depth=1
                                        ; =>  This Loop Header: Depth=2
                                        ;       Child Loop BB15_25 Depth 3
	s_and_saveexec_b32 s39, vcc_lo
	s_cbranch_execz .LBB15_22
; %bb.24:                               ;   in Loop: Header=BB15_23 Depth=2
	v_ashrrev_i32_e32 v12, 31, v11
	v_mul_lo_u32 v5, v9, s19
	v_mul_lo_u32 v6, v3, s18
	s_mov_b32 s40, 0
	s_delay_alu instid0(VALU_DEP_3) | instskip(SKIP_1) | instid1(VALU_DEP_2)
	v_mad_co_u64_u32 v[3:4], null, v9, s18, v[11:12]
	v_mov_b32_e32 v12, v11
	v_add3_u32 v4, v6, v4, v5
	s_delay_alu instid0(VALU_DEP_1) | instskip(NEXT) | instid1(VALU_DEP_1)
	v_lshlrev_b64_e32 v[5:6], 1, v[3:4]
	v_add_co_u32 v5, s0, v13, v5
	s_wait_alu 0xf1ff
	s_delay_alu instid0(VALU_DEP_2)
	v_add_co_ci_u32_e64 v6, null, v14, v6, s0
.LBB15_25:                              ;   Parent Loop BB15_4 Depth=1
                                        ;     Parent Loop BB15_23 Depth=2
                                        ; =>    This Inner Loop Header: Depth=3
	global_load_u16 v19, v[5:6], off
	v_lshlrev_b32_e32 v20, 16, v10
	v_add_nc_u32_e32 v12, s25, v12
	v_add_co_u32 v5, s0, v5, s34
	s_wait_alu 0xf1ff
	v_add_co_ci_u32_e64 v6, null, s35, v6, s0
	s_delay_alu instid0(VALU_DEP_3) | instskip(SKIP_2) | instid1(VALU_DEP_1)
	v_cmp_ge_i32_e64 s0, v12, v18
	s_wait_loadcnt 0x0
	v_lshlrev_b32_e32 v21, 16, v19
	v_cmp_gt_f32_e64 s1, v21, v20
	v_cmp_u_f32_e64 s2, v21, v21
	s_or_b32 s1, s1, s2
	s_wait_alu 0xfffe
	s_or_b32 s40, s0, s40
	v_cndmask_b32_e64 v10, v10, v19, s1
	v_cndmask_b32_e64 v8, v8, v4, s1
	;; [unrolled: 1-line block ×3, first 2 shown]
	v_add_co_u32 v3, s1, v3, s8
	s_wait_alu 0xf1ff
	v_add_co_ci_u32_e64 v4, null, s9, v4, s1
	s_wait_alu 0xfffe
	s_and_not1_b32 exec_lo, exec_lo, s40
	s_cbranch_execnz .LBB15_25
; %bb.26:                               ;   in Loop: Header=BB15_23 Depth=2
	s_or_b32 exec_lo, exec_lo, s40
	s_branch .LBB15_22
.LBB15_27:
	s_endpgm
	.section	.rodata,"a",@progbits
	.p2align	6, 0x0
	.amdhsa_kernel _ZN2at6native12_GLOBAL__N_121max_pool_forward_nchwIN3c108BFloat16ElEEvT0_PKT_llliiiiiiiiiiPS6_Pl
		.amdhsa_group_segment_fixed_size 0
		.amdhsa_private_segment_fixed_size 0
		.amdhsa_kernarg_size 352
		.amdhsa_user_sgpr_count 2
		.amdhsa_user_sgpr_dispatch_ptr 0
		.amdhsa_user_sgpr_queue_ptr 0
		.amdhsa_user_sgpr_kernarg_segment_ptr 1
		.amdhsa_user_sgpr_dispatch_id 0
		.amdhsa_user_sgpr_private_segment_size 0
		.amdhsa_wavefront_size32 1
		.amdhsa_uses_dynamic_stack 0
		.amdhsa_enable_private_segment 0
		.amdhsa_system_sgpr_workgroup_id_x 1
		.amdhsa_system_sgpr_workgroup_id_y 0
		.amdhsa_system_sgpr_workgroup_id_z 0
		.amdhsa_system_sgpr_workgroup_info 0
		.amdhsa_system_vgpr_workitem_id 0
		.amdhsa_next_free_vgpr 25
		.amdhsa_next_free_sgpr 60
		.amdhsa_reserve_vcc 1
		.amdhsa_float_round_mode_32 0
		.amdhsa_float_round_mode_16_64 0
		.amdhsa_float_denorm_mode_32 3
		.amdhsa_float_denorm_mode_16_64 3
		.amdhsa_fp16_overflow 0
		.amdhsa_workgroup_processor_mode 1
		.amdhsa_memory_ordered 1
		.amdhsa_forward_progress 1
		.amdhsa_inst_pref_size 40
		.amdhsa_round_robin_scheduling 0
		.amdhsa_exception_fp_ieee_invalid_op 0
		.amdhsa_exception_fp_denorm_src 0
		.amdhsa_exception_fp_ieee_div_zero 0
		.amdhsa_exception_fp_ieee_overflow 0
		.amdhsa_exception_fp_ieee_underflow 0
		.amdhsa_exception_fp_ieee_inexact 0
		.amdhsa_exception_int_div_zero 0
	.end_amdhsa_kernel
	.section	.text._ZN2at6native12_GLOBAL__N_121max_pool_forward_nchwIN3c108BFloat16ElEEvT0_PKT_llliiiiiiiiiiPS6_Pl,"axG",@progbits,_ZN2at6native12_GLOBAL__N_121max_pool_forward_nchwIN3c108BFloat16ElEEvT0_PKT_llliiiiiiiiiiPS6_Pl,comdat
.Lfunc_end15:
	.size	_ZN2at6native12_GLOBAL__N_121max_pool_forward_nchwIN3c108BFloat16ElEEvT0_PKT_llliiiiiiiiiiPS6_Pl, .Lfunc_end15-_ZN2at6native12_GLOBAL__N_121max_pool_forward_nchwIN3c108BFloat16ElEEvT0_PKT_llliiiiiiiiiiPS6_Pl
                                        ; -- End function
	.set _ZN2at6native12_GLOBAL__N_121max_pool_forward_nchwIN3c108BFloat16ElEEvT0_PKT_llliiiiiiiiiiPS6_Pl.num_vgpr, 25
	.set _ZN2at6native12_GLOBAL__N_121max_pool_forward_nchwIN3c108BFloat16ElEEvT0_PKT_llliiiiiiiiiiPS6_Pl.num_agpr, 0
	.set _ZN2at6native12_GLOBAL__N_121max_pool_forward_nchwIN3c108BFloat16ElEEvT0_PKT_llliiiiiiiiiiPS6_Pl.numbered_sgpr, 60
	.set _ZN2at6native12_GLOBAL__N_121max_pool_forward_nchwIN3c108BFloat16ElEEvT0_PKT_llliiiiiiiiiiPS6_Pl.num_named_barrier, 0
	.set _ZN2at6native12_GLOBAL__N_121max_pool_forward_nchwIN3c108BFloat16ElEEvT0_PKT_llliiiiiiiiiiPS6_Pl.private_seg_size, 0
	.set _ZN2at6native12_GLOBAL__N_121max_pool_forward_nchwIN3c108BFloat16ElEEvT0_PKT_llliiiiiiiiiiPS6_Pl.uses_vcc, 1
	.set _ZN2at6native12_GLOBAL__N_121max_pool_forward_nchwIN3c108BFloat16ElEEvT0_PKT_llliiiiiiiiiiPS6_Pl.uses_flat_scratch, 0
	.set _ZN2at6native12_GLOBAL__N_121max_pool_forward_nchwIN3c108BFloat16ElEEvT0_PKT_llliiiiiiiiiiPS6_Pl.has_dyn_sized_stack, 0
	.set _ZN2at6native12_GLOBAL__N_121max_pool_forward_nchwIN3c108BFloat16ElEEvT0_PKT_llliiiiiiiiiiPS6_Pl.has_recursion, 0
	.set _ZN2at6native12_GLOBAL__N_121max_pool_forward_nchwIN3c108BFloat16ElEEvT0_PKT_llliiiiiiiiiiPS6_Pl.has_indirect_call, 0
	.section	.AMDGPU.csdata,"",@progbits
; Kernel info:
; codeLenInByte = 5092
; TotalNumSgprs: 62
; NumVgprs: 25
; ScratchSize: 0
; MemoryBound: 0
; FloatMode: 240
; IeeeMode: 1
; LDSByteSize: 0 bytes/workgroup (compile time only)
; SGPRBlocks: 0
; VGPRBlocks: 3
; NumSGPRsForWavesPerEU: 62
; NumVGPRsForWavesPerEU: 25
; Occupancy: 16
; WaveLimiterHint : 0
; COMPUTE_PGM_RSRC2:SCRATCH_EN: 0
; COMPUTE_PGM_RSRC2:USER_SGPR: 2
; COMPUTE_PGM_RSRC2:TRAP_HANDLER: 0
; COMPUTE_PGM_RSRC2:TGID_X_EN: 1
; COMPUTE_PGM_RSRC2:TGID_Y_EN: 0
; COMPUTE_PGM_RSRC2:TGID_Z_EN: 0
; COMPUTE_PGM_RSRC2:TIDIG_COMP_CNT: 0
	.section	.text._ZN2at6native12_GLOBAL__N_122max_pool_backward_nhwcIddEEvPKT_PKlillliiiiiiiiiiiiiiiPS3_,"axG",@progbits,_ZN2at6native12_GLOBAL__N_122max_pool_backward_nhwcIddEEvPKT_PKlillliiiiiiiiiiiiiiiPS3_,comdat
	.globl	_ZN2at6native12_GLOBAL__N_122max_pool_backward_nhwcIddEEvPKT_PKlillliiiiiiiiiiiiiiiPS3_ ; -- Begin function _ZN2at6native12_GLOBAL__N_122max_pool_backward_nhwcIddEEvPKT_PKlillliiiiiiiiiiiiiiiPS3_
	.p2align	8
	.type	_ZN2at6native12_GLOBAL__N_122max_pool_backward_nhwcIddEEvPKT_PKlillliiiiiiiiiiiiiiiPS3_,@function
_ZN2at6native12_GLOBAL__N_122max_pool_backward_nhwcIddEEvPKT_PKlillliiiiiiiiiiiiiiiPS3_: ; @_ZN2at6native12_GLOBAL__N_122max_pool_backward_nhwcIddEEvPKT_PKlillliiiiiiiiiiiiiiiPS3_
; %bb.0:
	s_clause 0x3
	s_load_b32 s37, s[0:1], 0x10
	s_load_b128 s[24:27], s[0:1], 0x7c
	s_load_b256 s[4:11], s[0:1], 0x50
	s_load_b256 s[12:19], s[0:1], 0x30
	v_bfe_u32 v2, v0, 10, 10
	v_bfe_u32 v1, v0, 20, 10
	v_and_b32_e32 v4, 0x3ff, v0
	s_mov_b32 s2, ttmp9
	s_mov_b32 s23, exec_lo
	s_wait_kmcnt 0x0
	s_cvt_f32_u32 s3, s37
	s_lshr_b32 s11, s26, 16
	s_and_b32 s36, s26, 0xffff
	v_mad_u32_u24 v8, v1, s11, v2
	v_rcp_iflag_f32_e32 v3, s3
	s_mul_i32 s20, s10, s36
	s_and_b32 s33, s27, 0xffff
	s_mul_i32 s22, s20, s11
	v_mad_co_u64_u32 v[5:6], null, v8, s36, v[4:5]
	s_mul_i32 s22, s22, s33
	s_delay_alu instid0(TRANS32_DEP_1) | instskip(SKIP_2) | instid1(SALU_CYCLE_2)
	v_readfirstlane_b32 s3, v3
	s_mul_f32 s3, s3, 0x4f7ffffe
	s_wait_alu 0xfffe
	s_cvt_u32_f32 s21, s3
	s_sub_co_i32 s3, 0, s37
	s_wait_alu 0xfffe
	s_delay_alu instid0(SALU_CYCLE_1)
	s_mul_i32 s3, s3, s21
	s_wait_alu 0xfffe
	s_mul_hi_u32 s20, s21, s3
	s_mov_b32 s3, 0
	s_add_co_i32 s20, s21, s20
	s_wait_alu 0xfffe
	s_mov_b32 s21, s3
	v_cmpx_gt_u32_e64 s22, v5
	s_cbranch_execz .LBB16_3
; %bb.1:
	v_mov_b32_e32 v6, 0
	s_mul_i32 s26, s11, s36
	v_lshl_add_u32 v0, v5, 3, 0
	s_mul_i32 s26, s26, s33
	s_mov_b32 s28, s3
	v_mov_b32_e32 v7, v6
	s_lshl_b32 s27, s26, 3
.LBB16_2:                               ; =>This Inner Loop Header: Depth=1
	v_add_nc_u32_e32 v5, s26, v5
	ds_store_b64 v0, v[6:7]
	v_add_nc_u32_e32 v0, s27, v0
	v_cmp_le_u32_e32 vcc_lo, s22, v5
	s_or_b32 s28, vcc_lo, s28
	s_delay_alu instid0(SALU_CYCLE_1)
	s_and_not1_b32 exec_lo, exec_lo, s28
	s_cbranch_execnz .LBB16_2
.LBB16_3:
	s_or_b32 exec_lo, exec_lo, s23
	s_mul_u64 s[2:3], s[2:3], s[20:21]
	s_clause 0x1
	s_load_b128 s[20:23], s[0:1], 0x18
	s_load_b64 s[28:29], s[0:1], 0x28
	s_mov_b32 s31, 0
	s_mov_b32 s30, s25
	s_wait_dscnt 0x0
	s_barrier_signal -1
	s_barrier_wait -1
	global_inv scope:SCOPE_SE
	s_wait_kmcnt 0x0
	s_add_nc_u64 s[26:27], s[22:23], s[30:31]
	s_wait_alu 0xfffe
	s_add_nc_u64 s[34:35], s[26:27], -1
	s_mov_b32 s26, s31
	s_mov_b32 s27, s35
	s_wait_alu 0xfffe
	s_cmp_lg_u64 s[26:27], 0
	s_cbranch_scc0 .LBB16_60
; %bb.4:
	s_add_nc_u64 s[26:27], s[30:31], 0
	s_mov_b32 s43, s31
	s_wait_alu 0xfffe
	s_xor_b64 s[26:27], s[26:27], 0
	s_mov_b32 s47, s31
	s_wait_alu 0xfffe
	s_cvt_f32_u32 s2, s26
	s_cvt_f32_u32 s25, s27
	s_sub_nc_u64 s[40:41], 0, s[26:27]
	s_wait_alu 0xfffe
	s_delay_alu instid0(SALU_CYCLE_1) | instskip(SKIP_1) | instid1(SALU_CYCLE_2)
	s_fmamk_f32 s2, s25, 0x4f800000, s2
	s_wait_alu 0xfffe
	v_s_rcp_f32 s2, s2
	s_delay_alu instid0(TRANS32_DEP_1) | instskip(SKIP_1) | instid1(SALU_CYCLE_2)
	s_mul_f32 s2, s2, 0x5f7ffffc
	s_wait_alu 0xfffe
	s_mul_f32 s25, s2, 0x2f800000
	s_delay_alu instid0(SALU_CYCLE_3) | instskip(NEXT) | instid1(SALU_CYCLE_3)
	s_trunc_f32 s25, s25
	s_fmamk_f32 s2, s25, 0xcf800000, s2
	s_cvt_u32_f32 s39, s25
	s_wait_alu 0xfffe
	s_delay_alu instid0(SALU_CYCLE_1) | instskip(NEXT) | instid1(SALU_CYCLE_3)
	s_cvt_u32_f32 s38, s2
	s_mul_u64 s[44:45], s[40:41], s[38:39]
	s_delay_alu instid0(SALU_CYCLE_1)
	s_mul_hi_u32 s49, s38, s45
	s_mul_i32 s48, s38, s45
	s_mul_hi_u32 s42, s38, s44
	s_mul_i32 s25, s39, s44
	s_add_nc_u64 s[42:43], s[42:43], s[48:49]
	s_mul_hi_u32 s2, s39, s44
	s_mul_hi_u32 s50, s39, s45
	s_add_co_u32 s25, s42, s25
	s_wait_alu 0xfffe
	s_add_co_ci_u32 s46, s43, s2
	s_mul_i32 s44, s39, s45
	s_add_co_ci_u32 s45, s50, 0
	s_delay_alu instid0(SALU_CYCLE_1)
	s_add_nc_u64 s[42:43], s[46:47], s[44:45]
	s_mov_b32 s45, s31
	s_add_co_u32 s38, s38, s42
	s_cselect_b32 s2, -1, 0
	s_wait_alu 0xfffe
	s_cmp_lg_u32 s2, 0
	s_add_co_ci_u32 s39, s39, s43
	s_mov_b32 s43, s31
	s_mul_u64 s[40:41], s[40:41], s[38:39]
	s_delay_alu instid0(SALU_CYCLE_1)
	s_mul_hi_u32 s47, s38, s41
	s_mul_i32 s46, s38, s41
	s_mul_hi_u32 s42, s38, s40
	s_mul_i32 s25, s39, s40
	s_add_nc_u64 s[42:43], s[42:43], s[46:47]
	s_mul_hi_u32 s2, s39, s40
	s_mul_hi_u32 s48, s39, s41
	s_add_co_u32 s25, s42, s25
	s_wait_alu 0xfffe
	s_add_co_ci_u32 s44, s43, s2
	s_mul_i32 s40, s39, s41
	s_add_co_ci_u32 s41, s48, 0
	s_mov_b32 s43, s31
	s_add_nc_u64 s[40:41], s[44:45], s[40:41]
	s_delay_alu instid0(SALU_CYCLE_1) | instskip(SKIP_1) | instid1(SALU_CYCLE_1)
	s_add_co_u32 s2, s38, s40
	s_cselect_b32 s25, -1, 0
	s_cmp_lg_u32 s25, 0
	s_add_co_ci_u32 s25, s39, s41
	s_ashr_i32 s38, s35, 31
	s_delay_alu instid0(SALU_CYCLE_1) | instskip(NEXT) | instid1(SALU_CYCLE_1)
	s_mov_b32 s39, s38
	s_add_nc_u64 s[40:41], s[34:35], s[38:39]
	s_delay_alu instid0(SALU_CYCLE_1) | instskip(NEXT) | instid1(SALU_CYCLE_1)
	s_xor_b64 s[40:41], s[40:41], s[38:39]
	s_mul_hi_u32 s47, s40, s25
	s_mul_i32 s46, s40, s25
	s_wait_alu 0xfffe
	s_mul_hi_u32 s42, s40, s2
	s_mul_hi_u32 s44, s41, s2
	s_mul_i32 s2, s41, s2
	s_add_nc_u64 s[42:43], s[42:43], s[46:47]
	s_mul_hi_u32 s35, s41, s25
	s_wait_alu 0xfffe
	s_add_co_u32 s2, s42, s2
	s_add_co_ci_u32 s44, s43, s44
	s_mul_i32 s46, s41, s25
	s_add_co_ci_u32 s47, s35, 0
	s_delay_alu instid0(SALU_CYCLE_1) | instskip(NEXT) | instid1(SALU_CYCLE_1)
	s_add_nc_u64 s[42:43], s[44:45], s[46:47]
	s_mul_u64 s[44:45], s[26:27], s[42:43]
	s_add_nc_u64 s[46:47], s[42:43], 1
	s_sub_co_u32 s2, s40, s44
	s_cselect_b32 s25, -1, 0
	s_sub_co_i32 s35, s41, s45
	s_cmp_lg_u32 s25, 0
	s_add_nc_u64 s[48:49], s[42:43], 2
	s_sub_co_ci_u32 s35, s35, s27
	s_wait_alu 0xfffe
	s_sub_co_u32 s40, s2, s26
	s_cselect_b32 s44, -1, 0
	s_delay_alu instid0(SALU_CYCLE_1) | instskip(SKIP_1) | instid1(SALU_CYCLE_1)
	s_cmp_lg_u32 s44, 0
	s_sub_co_ci_u32 s35, s35, 0
	s_cmp_ge_u32 s35, s27
	s_cselect_b32 s44, -1, 0
	s_cmp_ge_u32 s40, s26
	s_cselect_b32 s40, -1, 0
	s_cmp_eq_u32 s35, s27
	s_cselect_b32 s35, s40, s44
	s_delay_alu instid0(SALU_CYCLE_1) | instskip(SKIP_4) | instid1(SALU_CYCLE_1)
	s_cmp_lg_u32 s35, 0
	s_cselect_b32 s35, s48, s46
	s_cselect_b32 s40, s49, s47
	s_cmp_lg_u32 s25, 0
	s_sub_co_ci_u32 s25, s41, s45
	s_cmp_ge_u32 s25, s27
	s_cselect_b32 s41, -1, 0
	s_cmp_ge_u32 s2, s26
	s_cselect_b32 s2, -1, 0
	s_cmp_eq_u32 s25, s27
	s_wait_alu 0xfffe
	s_cselect_b32 s2, s2, s41
	s_wait_alu 0xfffe
	s_cmp_lg_u32 s2, 0
	s_cselect_b32 s27, s40, s43
	s_cselect_b32 s26, s35, s42
	s_xor_b64 s[38:39], s[38:39], 0
	s_wait_alu 0xfffe
	s_xor_b64 s[26:27], s[26:27], s[38:39]
	s_wait_alu 0xfffe
	s_sub_nc_u64 s[26:27], s[26:27], s[38:39]
	s_and_not1_b32 vcc_lo, exec_lo, s31
	s_cbranch_vccnz .LBB16_6
.LBB16_5:
	v_cvt_f32_u32_e32 v0, s30
	s_sub_co_i32 s25, 0, s30
	s_delay_alu instid0(VALU_DEP_1) | instskip(NEXT) | instid1(TRANS32_DEP_1)
	v_rcp_iflag_f32_e32 v0, v0
	v_mul_f32_e32 v0, 0x4f7ffffe, v0
	s_delay_alu instid0(VALU_DEP_1) | instskip(NEXT) | instid1(VALU_DEP_1)
	v_cvt_u32_f32_e32 v0, v0
	v_readfirstlane_b32 s2, v0
	s_mul_i32 s25, s25, s2
	s_delay_alu instid0(SALU_CYCLE_1) | instskip(NEXT) | instid1(SALU_CYCLE_1)
	s_mul_hi_u32 s25, s2, s25
	s_add_co_i32 s2, s2, s25
	s_wait_alu 0xfffe
	s_mul_hi_u32 s2, s34, s2
	s_wait_alu 0xfffe
	s_mul_i32 s25, s2, s30
	s_add_co_i32 s26, s2, 1
	s_sub_co_i32 s25, s34, s25
	s_delay_alu instid0(SALU_CYCLE_1)
	s_sub_co_i32 s27, s25, s30
	s_cmp_ge_u32 s25, s30
	s_wait_alu 0xfffe
	s_cselect_b32 s2, s26, s2
	s_cselect_b32 s25, s27, s25
	s_wait_alu 0xfffe
	s_add_co_i32 s26, s2, 1
	s_cmp_ge_u32 s25, s30
	s_mov_b32 s27, 0
	s_wait_alu 0xfffe
	s_cselect_b32 s26, s26, s2
.LBB16_6:
	s_mov_b32 s25, 0
	s_delay_alu instid0(SALU_CYCLE_1)
	s_add_nc_u64 s[30:31], s[28:29], s[24:25]
	s_mov_b32 s34, s25
	s_wait_alu 0xfffe
	s_add_nc_u64 s[30:31], s[30:31], -1
	s_wait_alu 0xfffe
	s_mov_b32 s35, s31
	s_delay_alu instid0(SALU_CYCLE_1)
	s_cmp_lg_u64 s[34:35], 0
	s_cbranch_scc0 .LBB16_61
; %bb.7:
	s_add_nc_u64 s[34:35], s[24:25], 0
	s_mov_b32 s43, s25
	s_xor_b64 s[34:35], s[34:35], 0
	s_mov_b32 s47, s25
	s_cvt_f32_u32 s2, s34
	s_cvt_f32_u32 s38, s35
	s_sub_nc_u64 s[40:41], 0, s[34:35]
	s_wait_alu 0xfffe
	s_delay_alu instid0(SALU_CYCLE_1) | instskip(SKIP_1) | instid1(SALU_CYCLE_2)
	s_fmamk_f32 s2, s38, 0x4f800000, s2
	s_wait_alu 0xfffe
	v_s_rcp_f32 s2, s2
	s_delay_alu instid0(TRANS32_DEP_1) | instskip(SKIP_1) | instid1(SALU_CYCLE_2)
	s_mul_f32 s2, s2, 0x5f7ffffc
	s_wait_alu 0xfffe
	s_mul_f32 s38, s2, 0x2f800000
	s_delay_alu instid0(SALU_CYCLE_3) | instskip(NEXT) | instid1(SALU_CYCLE_3)
	s_trunc_f32 s38, s38
	s_fmamk_f32 s2, s38, 0xcf800000, s2
	s_cvt_u32_f32 s39, s38
	s_wait_alu 0xfffe
	s_delay_alu instid0(SALU_CYCLE_1) | instskip(NEXT) | instid1(SALU_CYCLE_3)
	s_cvt_u32_f32 s38, s2
	s_mul_u64 s[44:45], s[40:41], s[38:39]
	s_delay_alu instid0(SALU_CYCLE_1)
	s_mul_hi_u32 s49, s38, s45
	s_mul_i32 s48, s38, s45
	s_mul_hi_u32 s42, s38, s44
	s_mul_i32 s46, s39, s44
	s_add_nc_u64 s[42:43], s[42:43], s[48:49]
	s_mul_hi_u32 s2, s39, s44
	s_mul_hi_u32 s50, s39, s45
	s_add_co_u32 s42, s42, s46
	s_wait_alu 0xfffe
	s_add_co_ci_u32 s46, s43, s2
	s_mul_i32 s44, s39, s45
	s_add_co_ci_u32 s45, s50, 0
	s_delay_alu instid0(SALU_CYCLE_1)
	s_add_nc_u64 s[42:43], s[46:47], s[44:45]
	s_mov_b32 s45, s25
	s_add_co_u32 s38, s38, s42
	s_cselect_b32 s2, -1, 0
	s_wait_alu 0xfffe
	s_cmp_lg_u32 s2, 0
	s_add_co_ci_u32 s39, s39, s43
	s_mov_b32 s43, s25
	s_mul_u64 s[40:41], s[40:41], s[38:39]
	s_delay_alu instid0(SALU_CYCLE_1)
	s_mul_hi_u32 s47, s38, s41
	s_mul_i32 s46, s38, s41
	s_mul_hi_u32 s42, s38, s40
	s_mul_i32 s44, s39, s40
	s_add_nc_u64 s[42:43], s[42:43], s[46:47]
	s_mul_hi_u32 s2, s39, s40
	s_mul_hi_u32 s48, s39, s41
	s_mul_i32 s40, s39, s41
	s_add_co_u32 s41, s42, s44
	s_wait_alu 0xfffe
	s_add_co_ci_u32 s44, s43, s2
	s_add_co_ci_u32 s41, s48, 0
	s_mov_b32 s43, s25
	s_add_nc_u64 s[40:41], s[44:45], s[40:41]
	s_delay_alu instid0(SALU_CYCLE_1) | instskip(SKIP_1) | instid1(SALU_CYCLE_1)
	s_add_co_u32 s2, s38, s40
	s_cselect_b32 s38, -1, 0
	s_cmp_lg_u32 s38, 0
	s_add_co_ci_u32 s44, s39, s41
	s_ashr_i32 s38, s31, 31
	s_delay_alu instid0(SALU_CYCLE_1) | instskip(NEXT) | instid1(SALU_CYCLE_1)
	s_mov_b32 s39, s38
	s_add_nc_u64 s[40:41], s[30:31], s[38:39]
	s_delay_alu instid0(SALU_CYCLE_1) | instskip(NEXT) | instid1(SALU_CYCLE_1)
	s_xor_b64 s[40:41], s[40:41], s[38:39]
	s_mul_hi_u32 s47, s40, s44
	s_mul_i32 s46, s40, s44
	s_wait_alu 0xfffe
	s_mul_hi_u32 s42, s40, s2
	s_mul_hi_u32 s48, s41, s2
	s_mul_i32 s2, s41, s2
	s_add_nc_u64 s[42:43], s[42:43], s[46:47]
	s_mul_hi_u32 s31, s41, s44
	s_wait_alu 0xfffe
	s_add_co_u32 s2, s42, s2
	s_mul_i32 s46, s41, s44
	s_add_co_ci_u32 s44, s43, s48
	s_add_co_ci_u32 s47, s31, 0
	s_delay_alu instid0(SALU_CYCLE_1) | instskip(NEXT) | instid1(SALU_CYCLE_1)
	s_add_nc_u64 s[42:43], s[44:45], s[46:47]
	s_mul_u64 s[44:45], s[34:35], s[42:43]
	s_delay_alu instid0(SALU_CYCLE_1)
	s_sub_co_u32 s2, s40, s44
	s_cselect_b32 s31, -1, 0
	s_sub_co_i32 s40, s41, s45
	s_wait_alu 0xfffe
	s_cmp_lg_u32 s31, 0
	s_sub_co_ci_u32 s40, s40, s35
	s_sub_co_u32 s44, s2, s34
	s_cselect_b32 s46, -1, 0
	s_delay_alu instid0(SALU_CYCLE_1) | instskip(SKIP_2) | instid1(SALU_CYCLE_1)
	s_cmp_lg_u32 s46, 0
	s_add_nc_u64 s[46:47], s[42:43], 1
	s_sub_co_ci_u32 s40, s40, 0
	s_cmp_ge_u32 s40, s35
	s_cselect_b32 s48, -1, 0
	s_cmp_ge_u32 s44, s34
	s_cselect_b32 s44, -1, 0
	s_cmp_eq_u32 s40, s35
	s_cselect_b32 s40, s44, s48
	s_add_nc_u64 s[48:49], s[42:43], 2
	s_cmp_lg_u32 s40, 0
	s_cselect_b32 s40, s48, s46
	s_cselect_b32 s44, s49, s47
	s_cmp_lg_u32 s31, 0
	s_sub_co_ci_u32 s31, s41, s45
	s_wait_alu 0xfffe
	s_cmp_ge_u32 s31, s35
	s_cselect_b32 s41, -1, 0
	s_cmp_ge_u32 s2, s34
	s_cselect_b32 s2, -1, 0
	s_cmp_eq_u32 s31, s35
	s_wait_alu 0xfffe
	s_cselect_b32 s2, s2, s41
	s_wait_alu 0xfffe
	s_cmp_lg_u32 s2, 0
	s_cselect_b32 s35, s44, s43
	s_cselect_b32 s34, s40, s42
	s_xor_b64 s[38:39], s[38:39], 0
	s_delay_alu instid0(SALU_CYCLE_1) | instskip(NEXT) | instid1(SALU_CYCLE_1)
	s_xor_b64 s[34:35], s[34:35], s[38:39]
	s_sub_nc_u64 s[34:35], s[34:35], s[38:39]
	s_and_not1_b32 vcc_lo, exec_lo, s25
	s_cbranch_vccnz .LBB16_9
.LBB16_8:
	v_cvt_f32_u32_e32 v0, s24
	s_sub_co_i32 s25, 0, s24
	s_mov_b32 s35, 0
	s_delay_alu instid0(VALU_DEP_1) | instskip(NEXT) | instid1(TRANS32_DEP_1)
	v_rcp_iflag_f32_e32 v0, v0
	v_mul_f32_e32 v0, 0x4f7ffffe, v0
	s_delay_alu instid0(VALU_DEP_1) | instskip(NEXT) | instid1(VALU_DEP_1)
	v_cvt_u32_f32_e32 v0, v0
	v_readfirstlane_b32 s2, v0
	s_wait_alu 0xfffe
	s_mul_i32 s25, s25, s2
	s_wait_alu 0xfffe
	s_mul_hi_u32 s25, s2, s25
	s_wait_alu 0xfffe
	s_add_co_i32 s2, s2, s25
	s_wait_alu 0xfffe
	s_mul_hi_u32 s2, s30, s2
	s_wait_alu 0xfffe
	s_mul_i32 s25, s2, s24
	s_wait_alu 0xfffe
	s_sub_co_i32 s25, s30, s25
	s_add_co_i32 s30, s2, 1
	s_wait_alu 0xfffe
	s_sub_co_i32 s31, s25, s24
	s_cmp_ge_u32 s25, s24
	s_cselect_b32 s2, s30, s2
	s_wait_alu 0xfffe
	s_cselect_b32 s25, s31, s25
	s_add_co_i32 s30, s2, 1
	s_wait_alu 0xfffe
	s_cmp_ge_u32 s25, s24
	s_cselect_b32 s34, s30, s2
.LBB16_9:
	s_lshr_b32 s2, ttmp7, 16
	s_bfe_i64 s[24:25], s[26:27], 0x200000
	s_wait_alu 0xfffe
	v_mad_co_u64_u32 v[0:1], null, s2, s26, v[1:2]
	s_mov_b32 s2, exec_lo
	v_ashrrev_i32_e32 v1, 31, v0
	v_add_co_u32 v5, vcc_lo, s24, v0
	s_delay_alu instid0(VALU_DEP_1) | instskip(NEXT) | instid1(VALU_DEP_1)
	v_add_co_ci_u32_e64 v6, null, s25, v1, vcc_lo
	v_cmp_gt_i64_e32 vcc_lo, s[22:23], v[5:6]
	s_wait_alu 0xfffd
	v_cndmask_b32_e32 v29, s22, v5, vcc_lo
	s_delay_alu instid0(VALU_DEP_1)
	v_cmpx_lt_i32_e64 v0, v29
	s_cbranch_execz .LBB16_59
; %bb.10:
	s_and_b32 s2, ttmp7, 0xffff
	s_bfe_i64 s[30:31], s[34:35], 0x200000
	s_wait_alu 0xfffe
	v_mad_co_u64_u32 v[1:2], null, s2, s34, v[2:3]
	s_mul_i32 s2, s3, s37
	s_add_co_i32 s34, s3, 1
	s_wait_alu 0xfffe
	s_sub_co_i32 s2, ttmp9, s2
	s_clause 0x1
	s_load_b128 s[24:27], s[0:1], 0x0
	s_load_b64 s[0:1], s[0:1], 0x70
	s_sub_co_i32 s35, s2, s37
	s_cmp_ge_u32 s2, s37
	v_ashrrev_i32_e32 v3, 31, v1
	s_cselect_b32 s3, s34, s3
	s_wait_alu 0xfffe
	s_cselect_b32 s2, s35, s2
	s_add_co_i32 s34, s3, 1
	s_wait_alu 0xfffe
	s_cmp_ge_u32 s2, s37
	v_add_co_u32 v2, vcc_lo, s30, v1
	s_cselect_b32 s38, s34, s3
	s_mul_u64 s[22:23], s[22:23], s[20:21]
	s_mul_i32 s2, s38, s37
	s_wait_alu 0xfffd
	v_add_co_ci_u32_e64 v3, null, s31, v3, vcc_lo
	s_wait_alu 0xfffe
	s_sub_co_i32 s2, ttmp9, s2
	s_mul_i32 s30, s13, s12
	s_wait_alu 0xfffe
	s_ashr_i32 s3, s2, 31
	s_mul_u64 s[22:23], s[22:23], s[28:29]
	s_mul_i32 s30, s30, s2
	s_wait_alu 0xfffe
	s_mul_u64 s[2:3], s[22:23], s[2:3]
	v_cmp_gt_i64_e32 vcc_lo, s[28:29], v[2:3]
	s_wait_alu 0xfffe
	s_lshl_b64 s[2:3], s[2:3], 3
	s_abs_i32 s29, s16
	s_wait_kmcnt 0x0
	s_wait_alu 0xfffe
	s_add_nc_u64 s[22:23], s[0:1], s[2:3]
	s_cvt_f32_u32 s2, s29
	s_add_co_i32 s3, s14, -1
	s_wait_alu 0xfffd
	v_dual_cndmask_b32 v30, s28, v2 :: v_dual_lshlrev_b32 v7, 3, v4
	v_mad_co_u64_u32 v[2:3], null, s38, s36, v[4:5]
	s_wait_alu 0xfffe
	v_rcp_iflag_f32_e32 v5, s2
	s_abs_i32 s14, s17
	s_ashr_i32 s31, s30, 31
	s_cvt_f32_u32 s2, s14
	s_wait_alu 0xfffe
	s_mul_u64 s[30:31], s[20:21], s[30:31]
	s_add_co_i32 s38, s38, s9
	s_wait_alu 0xfffe
	s_lshl_b64 s[0:1], s[30:31], 3
	v_rcp_iflag_f32_e32 v6, s2
	s_add_nc_u64 s[26:27], s[26:27], s[0:1]
	s_add_nc_u64 s[24:25], s[24:25], s[0:1]
	v_readfirstlane_b32 s1, v5
	v_mul_lo_u32 v5, s10, v8
	s_mul_i32 s30, s4, s3
	s_sub_co_i32 s3, 0, s29
	v_ashrrev_i32_e32 v3, 31, v2
	s_mul_f32 s1, s1, 0x4f7ffffe
	s_add_co_i32 s0, s15, -1
	v_readfirstlane_b32 s2, v6
	v_mul_lo_u32 v31, s6, v2
	v_mul_lo_u32 v5, v5, s36
	s_cvt_u32_f32 s1, s1
	s_mul_i32 s5, s5, s0
	s_mul_f32 s2, s2, 0x4f7ffffe
	v_cmp_gt_i64_e64 s0, s[20:21], v[2:3]
	s_wait_alu 0xfffe
	s_mul_i32 s3, s3, s1
	s_mul_i32 s34, s9, s36
	s_wait_alu 0xfffe
	s_mul_hi_u32 s3, s1, s3
	s_cvt_u32_f32 s2, s2
	v_lshlrev_b32_e32 v6, 3, v5
	s_wait_alu 0xfffe
	s_add_co_i32 s35, s1, s3
	s_sub_co_i32 s1, 0, s14
	v_mad_co_u64_u32 v[4:5], null, s38, s36, v[4:5]
	s_mul_i32 s1, s1, s2
	v_mov_b32_e32 v5, 0
	v_add3_u32 v32, v6, v7, 0
	s_mul_hi_u32 s1, s2, s1
	s_not_b32 s31, s30
	s_not_b32 s15, s5
	s_ashr_i32 s10, s16, 31
	s_mov_b32 s16, 0
	s_ashr_i32 s17, s17, 31
	s_add_co_i32 s9, s2, s1
	s_mul_i32 s6, s34, s6
	s_lshl_b32 s36, s36, 3
	v_cmp_lt_i32_e32 vcc_lo, v1, v30
                                        ; implicit-def: $vgpr7_vgpr8
                                        ; implicit-def: $vgpr9_vgpr10
                                        ; implicit-def: $vgpr11_vgpr12
                                        ; implicit-def: $vgpr13_vgpr14
	s_branch .LBB16_13
.LBB16_11:                              ;   in Loop: Header=BB16_13 Depth=1
	s_or_b32 exec_lo, exec_lo, s38
.LBB16_12:                              ;   in Loop: Header=BB16_13 Depth=1
	s_wait_alu 0xfffe
	s_or_b32 exec_lo, exec_lo, s37
	v_add_nc_u32_e32 v0, s33, v0
	s_delay_alu instid0(VALU_DEP_1)
	v_cmp_ge_i32_e64 s1, v0, v29
	s_or_b32 s16, s1, s16
	s_wait_alu 0xfffe
	s_and_not1_b32 exec_lo, exec_lo, s16
	s_cbranch_execz .LBB16_59
.LBB16_13:                              ; =>This Loop Header: Depth=1
                                        ;     Child Loop BB16_19 Depth 2
                                        ;       Child Loop BB16_28 Depth 3
                                        ;         Child Loop BB16_31 Depth 4
                                        ;           Child Loop BB16_34 Depth 5
                                        ;       Child Loop BB16_40 Depth 3
                                        ;       Child Loop BB16_51 Depth 3
	;; [unrolled: 1-line block ×3, first 2 shown]
	v_dual_mov_b32 v33, v5 :: v_dual_add_nc_u32 v6, s18, v0
	s_mov_b32 s2, exec_lo
	s_delay_alu instid0(VALU_DEP_1)
	v_cmpx_lt_i32_e64 s30, v6
	s_cbranch_execz .LBB16_15
; %bb.14:                               ;   in Loop: Header=BB16_13 Depth=1
	s_wait_alu 0xfffe
	v_add_nc_u32_e32 v15, s31, v6
	s_delay_alu instid0(VALU_DEP_1) | instskip(NEXT) | instid1(VALU_DEP_1)
	v_sub_nc_u32_e32 v16, 0, v15
	v_max_i32_e32 v16, v15, v16
	v_ashrrev_i32_e32 v15, 31, v15
	s_delay_alu instid0(VALU_DEP_2) | instskip(NEXT) | instid1(VALU_DEP_2)
	v_mul_hi_u32 v17, v16, s35
	v_xor_b32_e32 v15, s10, v15
	s_delay_alu instid0(VALU_DEP_2) | instskip(NEXT) | instid1(VALU_DEP_1)
	v_mul_lo_u32 v18, v17, s29
	v_sub_nc_u32_e32 v16, v16, v18
	v_add_nc_u32_e32 v18, 1, v17
	s_delay_alu instid0(VALU_DEP_2) | instskip(SKIP_2) | instid1(VALU_DEP_1)
	v_subrev_nc_u32_e32 v19, s29, v16
	v_cmp_le_u32_e64 s1, s29, v16
	s_wait_alu 0xf1ff
	v_cndmask_b32_e64 v17, v17, v18, s1
	s_delay_alu instid0(VALU_DEP_3) | instskip(NEXT) | instid1(VALU_DEP_2)
	v_cndmask_b32_e64 v16, v16, v19, s1
	v_add_nc_u32_e32 v18, 1, v17
	s_delay_alu instid0(VALU_DEP_2) | instskip(SKIP_1) | instid1(VALU_DEP_1)
	v_cmp_le_u32_e64 s1, s29, v16
	s_wait_alu 0xf1ff
	v_cndmask_b32_e64 v16, v17, v18, s1
	s_delay_alu instid0(VALU_DEP_1) | instskip(NEXT) | instid1(VALU_DEP_1)
	v_xor_b32_e32 v16, v16, v15
	v_sub_nc_u32_e32 v15, v16, v15
	s_delay_alu instid0(VALU_DEP_1)
	v_add_nc_u32_e32 v33, 1, v15
.LBB16_15:                              ;   in Loop: Header=BB16_13 Depth=1
	s_wait_alu 0xfffe
	s_or_b32 exec_lo, exec_lo, s2
	s_and_saveexec_b32 s37, vcc_lo
	s_cbranch_execz .LBB16_12
; %bb.16:                               ;   in Loop: Header=BB16_13 Depth=1
	v_sub_nc_u32_e32 v15, 0, v6
	v_add_nc_u32_e32 v20, 1, v33
	v_mul_lo_u32 v35, v0, s28
	s_mov_b32 s38, 0
	v_mov_b32_e32 v39, v1
	v_max_i32_e32 v15, v6, v15
	v_ashrrev_i32_e32 v6, 31, v6
	v_mul_lo_u32 v36, s7, v20
	s_delay_alu instid0(VALU_DEP_3) | instskip(NEXT) | instid1(VALU_DEP_3)
	v_mul_hi_u32 v16, v15, s35
	v_xor_b32_e32 v6, s10, v6
	s_delay_alu instid0(VALU_DEP_2) | instskip(NEXT) | instid1(VALU_DEP_1)
	v_mul_lo_u32 v17, v16, s29
	v_sub_nc_u32_e32 v15, v15, v17
	v_add_nc_u32_e32 v17, 1, v16
	s_delay_alu instid0(VALU_DEP_2) | instskip(SKIP_2) | instid1(VALU_DEP_1)
	v_subrev_nc_u32_e32 v18, s29, v15
	v_cmp_le_u32_e64 s1, s29, v15
	s_wait_alu 0xf1ff
	v_cndmask_b32_e64 v16, v16, v17, s1
	s_delay_alu instid0(VALU_DEP_3) | instskip(NEXT) | instid1(VALU_DEP_2)
	v_cndmask_b32_e64 v15, v15, v18, s1
	v_add_nc_u32_e32 v17, 1, v16
	s_delay_alu instid0(VALU_DEP_2) | instskip(SKIP_1) | instid1(VALU_DEP_1)
	v_cmp_le_u32_e64 s1, s29, v15
	s_wait_alu 0xf1ff
	v_cndmask_b32_e64 v15, v16, v17, s1
	s_delay_alu instid0(VALU_DEP_1) | instskip(SKIP_1) | instid1(VALU_DEP_2)
	v_xor_b32_e32 v16, v15, v6
	v_mul_lo_u32 v15, v33, s7
	v_sub_nc_u32_e32 v6, v16, v6
	s_delay_alu instid0(VALU_DEP_2) | instskip(NEXT) | instid1(VALU_DEP_2)
	v_ashrrev_i32_e32 v16, 31, v15
	v_add_nc_u32_e32 v6, 1, v6
	v_add_nc_u32_e32 v18, s7, v15
	s_delay_alu instid0(VALU_DEP_3) | instskip(NEXT) | instid1(VALU_DEP_3)
	v_lshlrev_b64_e32 v[16:17], 3, v[15:16]
	v_min_i32_e32 v34, s12, v6
	s_delay_alu instid0(VALU_DEP_3) | instskip(NEXT) | instid1(VALU_DEP_3)
	v_ashrrev_i32_e32 v19, 31, v18
	v_add_co_u32 v37, s1, s26, v16
	s_delay_alu instid0(VALU_DEP_3) | instskip(SKIP_1) | instid1(VALU_DEP_4)
	v_sub_nc_u32_e32 v6, v34, v33
	v_cmp_eq_u32_e64 s3, v20, v34
	v_lshlrev_b64_e32 v[18:19], 3, v[18:19]
	s_wait_alu 0xf1ff
	v_add_co_ci_u32_e64 v38, null, s27, v17, s1
	v_cmp_gt_i32_e64 s4, 3, v6
	v_cmp_gt_i32_e64 s1, v34, v33
	v_cmp_lt_i32_e64 s2, v20, v34
	s_xor_b32 s39, s3, -1
	s_xor_b32 s40, s4, -1
	s_branch .LBB16_19
.LBB16_17:                              ;   in Loop: Header=BB16_19 Depth=2
	s_or_b32 exec_lo, exec_lo, s41
.LBB16_18:                              ;   in Loop: Header=BB16_19 Depth=2
	s_wait_alu 0xfffe
	s_or_b32 exec_lo, exec_lo, s4
	v_add_nc_u32_e32 v39, s11, v39
	s_delay_alu instid0(VALU_DEP_1)
	v_cmp_ge_i32_e64 s3, v39, v30
	s_or_b32 s38, s3, s38
	s_wait_alu 0xfffe
	s_and_not1_b32 exec_lo, exec_lo, s38
	s_cbranch_execz .LBB16_11
.LBB16_19:                              ;   Parent Loop BB16_13 Depth=1
                                        ; =>  This Loop Header: Depth=2
                                        ;       Child Loop BB16_28 Depth 3
                                        ;         Child Loop BB16_31 Depth 4
                                        ;           Child Loop BB16_34 Depth 5
                                        ;       Child Loop BB16_40 Depth 3
                                        ;       Child Loop BB16_51 Depth 3
	;; [unrolled: 1-line block ×3, first 2 shown]
	v_add_nc_u32_e32 v20, s19, v39
	v_mov_b32_e32 v6, 0
	s_mov_b32 s4, exec_lo
	s_delay_alu instid0(VALU_DEP_2)
	v_cmpx_lt_i32_e64 s5, v20
	s_cbranch_execz .LBB16_21
; %bb.20:                               ;   in Loop: Header=BB16_19 Depth=2
	v_add_nc_u32_e32 v6, s15, v20
	s_delay_alu instid0(VALU_DEP_1) | instskip(NEXT) | instid1(VALU_DEP_1)
	v_sub_nc_u32_e32 v21, 0, v6
	v_max_i32_e32 v21, v6, v21
	v_ashrrev_i32_e32 v6, 31, v6
	s_delay_alu instid0(VALU_DEP_2) | instskip(NEXT) | instid1(VALU_DEP_2)
	v_mul_hi_u32 v22, v21, s9
	v_xor_b32_e32 v6, s17, v6
	s_delay_alu instid0(VALU_DEP_2) | instskip(NEXT) | instid1(VALU_DEP_1)
	v_mul_lo_u32 v23, v22, s14
	v_sub_nc_u32_e32 v21, v21, v23
	v_add_nc_u32_e32 v23, 1, v22
	s_delay_alu instid0(VALU_DEP_2) | instskip(SKIP_2) | instid1(VALU_DEP_1)
	v_subrev_nc_u32_e32 v24, s14, v21
	v_cmp_le_u32_e64 s3, s14, v21
	s_wait_alu 0xf1ff
	v_cndmask_b32_e64 v22, v22, v23, s3
	s_delay_alu instid0(VALU_DEP_3) | instskip(NEXT) | instid1(VALU_DEP_2)
	v_cndmask_b32_e64 v21, v21, v24, s3
	v_add_nc_u32_e32 v23, 1, v22
	s_delay_alu instid0(VALU_DEP_2) | instskip(SKIP_1) | instid1(VALU_DEP_1)
	v_cmp_le_u32_e64 s3, s14, v21
	s_wait_alu 0xf1ff
	v_cndmask_b32_e64 v21, v22, v23, s3
	s_delay_alu instid0(VALU_DEP_1) | instskip(NEXT) | instid1(VALU_DEP_1)
	v_xor_b32_e32 v21, v21, v6
	v_sub_nc_u32_e32 v6, v21, v6
	s_delay_alu instid0(VALU_DEP_1)
	v_add_nc_u32_e32 v6, 1, v6
.LBB16_21:                              ;   in Loop: Header=BB16_19 Depth=2
	s_wait_alu 0xfffe
	s_or_b32 exec_lo, exec_lo, s4
	v_sub_nc_u32_e32 v21, 0, v20
	s_delay_alu instid0(VALU_DEP_1) | instskip(SKIP_1) | instid1(VALU_DEP_2)
	v_max_i32_e32 v21, v20, v21
	v_ashrrev_i32_e32 v20, 31, v20
	v_mul_hi_u32 v22, v21, s9
	s_delay_alu instid0(VALU_DEP_2) | instskip(NEXT) | instid1(VALU_DEP_2)
	v_xor_b32_e32 v20, s17, v20
	v_mul_lo_u32 v23, v22, s14
	s_delay_alu instid0(VALU_DEP_1) | instskip(SKIP_1) | instid1(VALU_DEP_2)
	v_sub_nc_u32_e32 v21, v21, v23
	v_add_nc_u32_e32 v23, 1, v22
	v_subrev_nc_u32_e32 v24, s14, v21
	v_cmp_le_u32_e64 s3, s14, v21
	s_wait_alu 0xf1ff
	s_delay_alu instid0(VALU_DEP_1) | instskip(NEXT) | instid1(VALU_DEP_3)
	v_cndmask_b32_e64 v22, v22, v23, s3
	v_cndmask_b32_e64 v21, v21, v24, s3
	s_delay_alu instid0(VALU_DEP_2) | instskip(NEXT) | instid1(VALU_DEP_2)
	v_add_nc_u32_e32 v23, 1, v22
	v_cmp_le_u32_e64 s3, s14, v21
	s_wait_alu 0xf1ff
	s_delay_alu instid0(VALU_DEP_1) | instskip(NEXT) | instid1(VALU_DEP_1)
	v_cndmask_b32_e64 v21, v22, v23, s3
	v_xor_b32_e32 v21, v21, v20
	s_delay_alu instid0(VALU_DEP_1) | instskip(SKIP_1) | instid1(VALU_DEP_2)
	v_sub_nc_u32_e32 v20, v21, v20
	v_add_nc_u32_e32 v21, 1, v6
	v_add_nc_u32_e32 v20, 1, v20
	s_delay_alu instid0(VALU_DEP_1) | instskip(SKIP_1) | instid1(VALU_DEP_2)
	v_min_i32_e32 v27, s13, v20
	v_add_nc_u32_e32 v20, v39, v35
	v_cmp_ne_u32_e64 s3, v21, v27
	s_or_b32 s3, s39, s3
	s_wait_alu 0xfffe
	s_and_saveexec_b32 s4, s3
	s_wait_alu 0xfffe
	s_xor_b32 s41, exec_lo, s4
	s_cbranch_execz .LBB16_53
; %bb.22:                               ;   in Loop: Header=BB16_19 Depth=2
	v_sub_nc_u32_e32 v22, v27, v6
	s_delay_alu instid0(VALU_DEP_1)
	v_cmp_lt_i32_e64 s3, 2, v22
	s_or_b32 s3, s40, s3
	s_wait_alu 0xfffe
	s_and_saveexec_b32 s4, s3
	s_wait_alu 0xfffe
	s_xor_b32 s42, exec_lo, s4
	s_cbranch_execnz .LBB16_25
; %bb.23:                               ;   in Loop: Header=BB16_19 Depth=2
	s_and_not1_saveexec_b32 s42, s42
	s_cbranch_execnz .LBB16_37
.LBB16_24:                              ;   in Loop: Header=BB16_19 Depth=2
	s_or_b32 exec_lo, exec_lo, s42
	s_and_saveexec_b32 s42, s0
	s_cbranch_execnz .LBB16_50
	s_branch .LBB16_52
.LBB16_25:                              ;   in Loop: Header=BB16_19 Depth=2
	s_and_saveexec_b32 s43, s1
	s_cbranch_execz .LBB16_36
; %bb.26:                               ;   in Loop: Header=BB16_19 Depth=2
	v_mad_co_u64_u32 v[22:23], null, s8, v6, v[15:16]
	v_cmp_gt_i32_e64 s3, v27, v6
	v_ashrrev_i32_e32 v21, 31, v20
	v_mov_b32_e32 v28, v33
	s_mov_b32 s44, 0
	s_branch .LBB16_28
.LBB16_27:                              ;   in Loop: Header=BB16_28 Depth=3
	s_or_b32 exec_lo, exec_lo, s45
	v_add_nc_u32_e32 v28, 1, v28
	v_add_nc_u32_e32 v22, s7, v22
	s_delay_alu instid0(VALU_DEP_2) | instskip(SKIP_1) | instid1(SALU_CYCLE_1)
	v_cmp_ge_i32_e64 s4, v28, v34
	s_or_b32 s44, s4, s44
	s_and_not1_b32 exec_lo, exec_lo, s44
	s_cbranch_execz .LBB16_36
.LBB16_28:                              ;   Parent Loop BB16_13 Depth=1
                                        ;     Parent Loop BB16_19 Depth=2
                                        ; =>    This Loop Header: Depth=3
                                        ;         Child Loop BB16_31 Depth 4
                                        ;           Child Loop BB16_34 Depth 5
	s_and_saveexec_b32 s45, s3
	s_cbranch_execz .LBB16_27
; %bb.29:                               ;   in Loop: Header=BB16_28 Depth=3
	v_mul_lo_u32 v23, v28, s7
	v_dual_mov_b32 v40, v22 :: v_dual_mov_b32 v43, v6
	s_mov_b32 s46, 0
	s_delay_alu instid0(VALU_DEP_2) | instskip(NEXT) | instid1(VALU_DEP_1)
	v_ashrrev_i32_e32 v24, 31, v23
	v_lshlrev_b64_e32 v[23:24], 3, v[23:24]
	s_delay_alu instid0(VALU_DEP_1) | instskip(SKIP_1) | instid1(VALU_DEP_2)
	v_add_co_u32 v41, s4, s26, v23
	s_wait_alu 0xf1ff
	v_add_co_ci_u32_e64 v42, null, s27, v24, s4
	s_branch .LBB16_31
.LBB16_30:                              ;   in Loop: Header=BB16_31 Depth=4
	s_or_b32 exec_lo, exec_lo, s47
	v_add_nc_u32_e32 v43, 1, v43
	v_add_nc_u32_e32 v40, s8, v40
	s_delay_alu instid0(VALU_DEP_2) | instskip(SKIP_1) | instid1(SALU_CYCLE_1)
	v_cmp_ge_i32_e64 s4, v43, v27
	s_or_b32 s46, s4, s46
	s_and_not1_b32 exec_lo, exec_lo, s46
	s_cbranch_execz .LBB16_27
.LBB16_31:                              ;   Parent Loop BB16_13 Depth=1
                                        ;     Parent Loop BB16_19 Depth=2
                                        ;       Parent Loop BB16_28 Depth=3
                                        ; =>      This Loop Header: Depth=4
                                        ;           Child Loop BB16_34 Depth 5
	s_and_saveexec_b32 s47, s0
	s_cbranch_execz .LBB16_30
; %bb.32:                               ;   in Loop: Header=BB16_31 Depth=4
	v_mul_lo_u32 v23, v43, s8
	v_mov_b32_e32 v44, v32
	s_mov_b32 s48, 0
	s_delay_alu instid0(VALU_DEP_2) | instskip(NEXT) | instid1(VALU_DEP_1)
	v_ashrrev_i32_e32 v24, 31, v23
	v_lshlrev_b64_e32 v[24:25], 3, v[23:24]
	v_mov_b32_e32 v23, v4
	s_delay_alu instid0(VALU_DEP_2) | instskip(SKIP_1) | instid1(VALU_DEP_3)
	v_add_co_u32 v45, s4, v41, v24
	s_wait_alu 0xf1ff
	v_add_co_ci_u32_e64 v46, null, v42, v25, s4
	v_mov_b32_e32 v25, v31
	s_branch .LBB16_34
.LBB16_33:                              ;   in Loop: Header=BB16_34 Depth=5
	s_wait_alu 0xfffe
	s_or_b32 exec_lo, exec_lo, s49
	v_ashrrev_i32_e32 v24, 31, v23
	v_add_nc_u32_e32 v25, s6, v25
	v_add_nc_u32_e32 v44, s36, v44
	s_delay_alu instid0(VALU_DEP_3)
	v_cmp_le_i64_e64 s4, s[20:21], v[23:24]
	v_add_nc_u32_e32 v23, s34, v23
	s_or_b32 s48, s4, s48
	s_wait_alu 0xfffe
	s_and_not1_b32 exec_lo, exec_lo, s48
	s_cbranch_execz .LBB16_30
.LBB16_34:                              ;   Parent Loop BB16_13 Depth=1
                                        ;     Parent Loop BB16_19 Depth=2
                                        ;       Parent Loop BB16_28 Depth=3
                                        ;         Parent Loop BB16_31 Depth=4
                                        ; =>        This Inner Loop Header: Depth=5
	s_delay_alu instid0(VALU_DEP_1) | instskip(SKIP_1) | instid1(VALU_DEP_1)
	v_ashrrev_i32_e32 v26, 31, v25
	s_mov_b32 s49, exec_lo
	v_lshlrev_b64_e32 v[47:48], 3, v[25:26]
	s_delay_alu instid0(VALU_DEP_1) | instskip(SKIP_1) | instid1(VALU_DEP_2)
	v_add_co_u32 v47, s4, v45, v47
	s_wait_alu 0xf1ff
	v_add_co_ci_u32_e64 v48, null, v46, v48, s4
	global_load_b64 v[47:48], v[47:48], off
	s_wait_loadcnt 0x0
	v_cmpx_eq_u64_e64 v[47:48], v[20:21]
	s_cbranch_execz .LBB16_33
; %bb.35:                               ;   in Loop: Header=BB16_34 Depth=5
	v_add_nc_u32_e32 v47, v40, v25
	ds_load_b64 v[49:50], v44
	v_ashrrev_i32_e32 v48, 31, v47
	s_delay_alu instid0(VALU_DEP_1) | instskip(NEXT) | instid1(VALU_DEP_1)
	v_lshlrev_b64_e32 v[47:48], 3, v[47:48]
	v_add_co_u32 v47, s4, s24, v47
	s_wait_alu 0xf1ff
	s_delay_alu instid0(VALU_DEP_2)
	v_add_co_ci_u32_e64 v48, null, s25, v48, s4
	global_load_b64 v[47:48], v[47:48], off
	s_wait_loadcnt_dscnt 0x0
	v_add_f64_e32 v[47:48], v[47:48], v[49:50]
	ds_store_b64 v44, v[47:48]
	s_branch .LBB16_33
.LBB16_36:                              ;   in Loop: Header=BB16_19 Depth=2
	s_or_b32 exec_lo, exec_lo, s43
                                        ; implicit-def: $vgpr27
                                        ; implicit-def: $vgpr6
                                        ; implicit-def: $vgpr21
	s_and_not1_saveexec_b32 s42, s42
	s_cbranch_execz .LBB16_24
.LBB16_37:                              ;   in Loop: Header=BB16_19 Depth=2
	s_and_saveexec_b32 s43, s0
	s_cbranch_execz .LBB16_49
; %bb.38:                               ;   in Loop: Header=BB16_19 Depth=2
	v_mul_lo_u32 v22, v6, s8
	v_cmp_gt_i32_e64 s3, v27, v6
	v_cmp_lt_i32_e64 s4, v21, v27
	v_dual_mov_b32 v6, v32 :: v_dual_mov_b32 v27, v31
	s_and_b32 s44, s1, s3
	s_and_b32 s45, s1, s4
	v_add_nc_u32_e32 v24, s8, v22
	v_ashrrev_i32_e32 v23, 31, v22
	v_add_nc_u32_e32 v40, v36, v22
	v_add_nc_u32_e32 v41, v15, v22
	s_and_b32 s46, s2, s3
	v_ashrrev_i32_e32 v25, 31, v24
	v_add_nc_u32_e32 v42, v36, v24
	v_add_nc_u32_e32 v43, v15, v24
	v_lshlrev_b64_e32 v[21:22], 3, v[22:23]
	s_and_b32 s47, s2, s4
	v_lshlrev_b64_e32 v[23:24], 3, v[24:25]
	v_mov_b32_e32 v25, v4
	s_mov_b32 s4, 0
	s_branch .LBB16_40
.LBB16_39:                              ;   in Loop: Header=BB16_40 Depth=3
	s_wait_alu 0xfffe
	s_or_b32 exec_lo, exec_lo, s51
	s_wait_loadcnt 0x0
	v_add_f64_e32 v[44:45], 0, v[13:14]
	ds_load_b64 v[48:49], v6
	v_ashrrev_i32_e32 v26, 31, v25
	v_add_nc_u32_e32 v27, s6, v27
	v_cndmask_b32_e64 v45, 0, v45, s48
	v_cndmask_b32_e64 v44, 0, v44, s48
	s_delay_alu instid0(VALU_DEP_1) | instskip(NEXT) | instid1(VALU_DEP_1)
	v_add_f64_e32 v[46:47], v[44:45], v[11:12]
	v_cndmask_b32_e64 v45, v45, v47, s50
	s_delay_alu instid0(VALU_DEP_2) | instskip(NEXT) | instid1(VALU_DEP_1)
	v_cndmask_b32_e64 v44, v44, v46, s50
	v_add_f64_e32 v[46:47], v[44:45], v[9:10]
	s_delay_alu instid0(VALU_DEP_1) | instskip(NEXT) | instid1(VALU_DEP_2)
	v_cndmask_b32_e64 v45, v45, v47, s49
	v_cndmask_b32_e64 v44, v44, v46, s49
	s_delay_alu instid0(VALU_DEP_1) | instskip(NEXT) | instid1(VALU_DEP_1)
	v_add_f64_e32 v[46:47], v[44:45], v[7:8]
	v_cndmask_b32_e64 v45, v45, v47, s3
	s_delay_alu instid0(VALU_DEP_2) | instskip(SKIP_3) | instid1(VALU_DEP_3)
	v_cndmask_b32_e64 v44, v44, v46, s3
	v_cmp_le_i64_e64 s3, s[20:21], v[25:26]
	v_add_nc_u32_e32 v25, s34, v25
	s_wait_dscnt 0x0
	v_add_f64_e32 v[44:45], v[44:45], v[48:49]
	s_or_b32 s4, s3, s4
	ds_store_b64 v6, v[44:45]
	v_add_nc_u32_e32 v6, s36, v6
	s_wait_alu 0xfffe
	s_and_not1_b32 exec_lo, exec_lo, s4
	s_cbranch_execz .LBB16_48
.LBB16_40:                              ;   Parent Loop BB16_13 Depth=1
                                        ;     Parent Loop BB16_19 Depth=2
                                        ; =>    This Inner Loop Header: Depth=3
	v_ashrrev_i32_e32 v28, 31, v27
	s_mov_b32 s48, 0
	s_delay_alu instid0(VALU_DEP_1) | instskip(NEXT) | instid1(VALU_DEP_1)
	v_lshlrev_b64_e32 v[44:45], 3, v[27:28]
	v_add_co_u32 v26, s3, s26, v44
	s_wait_alu 0xf1ff
	s_delay_alu instid0(VALU_DEP_2) | instskip(NEXT) | instid1(VALU_DEP_2)
	v_add_co_ci_u32_e64 v28, null, s27, v45, s3
	v_add_co_u32 v44, s3, v26, v16
	s_wait_alu 0xf1ff
	s_delay_alu instid0(VALU_DEP_2)
	v_add_co_ci_u32_e64 v45, null, v28, v17, s3
	s_and_saveexec_b32 s49, s44
	s_cbranch_execz .LBB16_42
; %bb.41:                               ;   in Loop: Header=BB16_40 Depth=3
	v_add_nc_u32_e32 v13, v41, v27
	v_add_co_u32 v46, s3, v44, v21
	s_wait_alu 0xf1ff
	v_add_co_ci_u32_e64 v47, null, v45, v22, s3
	s_delay_alu instid0(VALU_DEP_3) | instskip(SKIP_2) | instid1(VALU_DEP_1)
	v_ashrrev_i32_e32 v14, 31, v13
	global_load_b32 v46, v[46:47], off
	v_lshlrev_b64_e32 v[13:14], 3, v[13:14]
	v_add_co_u32 v13, s3, s24, v13
	s_wait_alu 0xf1ff
	s_delay_alu instid0(VALU_DEP_2)
	v_add_co_ci_u32_e64 v14, null, s25, v14, s3
	global_load_b64 v[13:14], v[13:14], off
	s_wait_loadcnt 0x1
	v_cmp_eq_u32_e64 s3, v20, v46
	s_and_b32 s48, s3, exec_lo
.LBB16_42:                              ;   in Loop: Header=BB16_40 Depth=3
	s_wait_alu 0xfffe
	s_or_b32 exec_lo, exec_lo, s49
	s_mov_b32 s49, 0
	s_mov_b32 s50, 0
	s_and_saveexec_b32 s51, s45
	s_cbranch_execz .LBB16_44
; %bb.43:                               ;   in Loop: Header=BB16_40 Depth=3
	v_add_nc_u32_e32 v11, v43, v27
	v_add_co_u32 v44, s3, v44, v23
	s_wait_alu 0xf1ff
	v_add_co_ci_u32_e64 v45, null, v45, v24, s3
	s_delay_alu instid0(VALU_DEP_3) | instskip(SKIP_2) | instid1(VALU_DEP_1)
	v_ashrrev_i32_e32 v12, 31, v11
	global_load_b32 v44, v[44:45], off
	v_lshlrev_b64_e32 v[11:12], 3, v[11:12]
	v_add_co_u32 v11, s3, s24, v11
	s_wait_alu 0xf1ff
	s_delay_alu instid0(VALU_DEP_2)
	v_add_co_ci_u32_e64 v12, null, s25, v12, s3
	global_load_b64 v[11:12], v[11:12], off
	s_wait_loadcnt 0x1
	v_cmp_eq_u32_e64 s3, v20, v44
	s_and_b32 s50, s3, exec_lo
.LBB16_44:                              ;   in Loop: Header=BB16_40 Depth=3
	s_wait_alu 0xfffe
	s_or_b32 exec_lo, exec_lo, s51
	v_add_co_u32 v26, s3, v26, v18
	s_wait_alu 0xf1ff
	v_add_co_ci_u32_e64 v28, null, v28, v19, s3
	s_and_saveexec_b32 s51, s46
	s_cbranch_execz .LBB16_46
; %bb.45:                               ;   in Loop: Header=BB16_40 Depth=3
	v_add_nc_u32_e32 v9, v40, v27
	v_add_co_u32 v44, s3, v26, v21
	s_wait_alu 0xf1ff
	v_add_co_ci_u32_e64 v45, null, v28, v22, s3
	s_delay_alu instid0(VALU_DEP_3) | instskip(SKIP_2) | instid1(VALU_DEP_1)
	v_ashrrev_i32_e32 v10, 31, v9
	global_load_b32 v44, v[44:45], off
	v_lshlrev_b64_e32 v[9:10], 3, v[9:10]
	v_add_co_u32 v9, s3, s24, v9
	s_wait_alu 0xf1ff
	s_delay_alu instid0(VALU_DEP_2)
	v_add_co_ci_u32_e64 v10, null, s25, v10, s3
	global_load_b64 v[9:10], v[9:10], off
	s_wait_loadcnt 0x1
	v_cmp_eq_u32_e64 s3, v20, v44
	s_and_b32 s49, s3, exec_lo
.LBB16_46:                              ;   in Loop: Header=BB16_40 Depth=3
	s_wait_alu 0xfffe
	s_or_b32 exec_lo, exec_lo, s51
	s_mov_b32 s3, 0
	s_and_saveexec_b32 s51, s47
	s_cbranch_execz .LBB16_39
; %bb.47:                               ;   in Loop: Header=BB16_40 Depth=3
	v_add_nc_u32_e32 v7, v42, v27
	v_add_co_u32 v44, s3, v26, v23
	s_wait_alu 0xf1fe
	v_add_co_ci_u32_e64 v45, null, v28, v24, s3
	s_delay_alu instid0(VALU_DEP_3) | instskip(SKIP_2) | instid1(VALU_DEP_1)
	v_ashrrev_i32_e32 v8, 31, v7
	global_load_b32 v26, v[44:45], off
	v_lshlrev_b64_e32 v[7:8], 3, v[7:8]
	v_add_co_u32 v7, s3, s24, v7
	s_wait_alu 0xf1ff
	s_delay_alu instid0(VALU_DEP_2)
	v_add_co_ci_u32_e64 v8, null, s25, v8, s3
	global_load_b64 v[7:8], v[7:8], off
	s_wait_loadcnt 0x1
	v_cmp_eq_u32_e64 s3, v20, v26
	s_and_b32 s3, s3, exec_lo
	s_branch .LBB16_39
.LBB16_48:                              ;   in Loop: Header=BB16_19 Depth=2
	s_or_b32 exec_lo, exec_lo, s4
.LBB16_49:                              ;   in Loop: Header=BB16_19 Depth=2
	s_delay_alu instid0(SALU_CYCLE_1) | instskip(NEXT) | instid1(SALU_CYCLE_1)
	s_or_b32 exec_lo, exec_lo, s43
	s_or_b32 exec_lo, exec_lo, s42
	s_and_saveexec_b32 s42, s0
	s_cbranch_execz .LBB16_52
.LBB16_50:                              ;   in Loop: Header=BB16_19 Depth=2
	v_ashrrev_i32_e32 v6, 31, v20
	v_mul_lo_u32 v22, s21, v20
	v_mad_co_u64_u32 v[20:21], null, s20, v20, 0
	v_mov_b32_e32 v24, v32
	s_delay_alu instid0(VALU_DEP_4) | instskip(SKIP_1) | instid1(VALU_DEP_1)
	v_mul_lo_u32 v6, s20, v6
	s_mov_b32 s43, 0
	v_add3_u32 v21, v21, v6, v22
	s_delay_alu instid0(VALU_DEP_1) | instskip(SKIP_1) | instid1(VALU_DEP_2)
	v_lshlrev_b64_e32 v[21:22], 3, v[20:21]
	v_mov_b32_e32 v20, v4
	v_add_co_u32 v25, s3, s22, v21
	s_wait_alu 0xf1ff
	s_delay_alu instid0(VALU_DEP_3)
	v_add_co_ci_u32_e64 v26, null, s23, v22, s3
	v_dual_mov_b32 v23, v3 :: v_dual_mov_b32 v22, v2
.LBB16_51:                              ;   Parent Loop BB16_13 Depth=1
                                        ;     Parent Loop BB16_19 Depth=2
                                        ; =>    This Inner Loop Header: Depth=3
	ds_load_b64 v[27:28], v24
	v_ashrrev_i32_e32 v21, 31, v20
	v_lshlrev_b64_e32 v[40:41], 3, v[22:23]
	s_delay_alu instid0(VALU_DEP_2) | instskip(SKIP_1) | instid1(VALU_DEP_3)
	v_dual_mov_b32 v6, v5 :: v_dual_mov_b32 v23, v21
	v_cmp_le_i64_e64 s3, s[20:21], v[20:21]
	v_add_co_u32 v40, s4, v25, v40
	ds_store_b64 v24, v[5:6]
	v_mov_b32_e32 v22, v20
	v_add_nc_u32_e32 v20, s34, v20
	s_wait_alu 0xf1ff
	v_add_co_ci_u32_e64 v41, null, v26, v41, s4
	v_add_nc_u32_e32 v24, s36, v24
	s_or_b32 s43, s3, s43
	s_wait_dscnt 0x1
	global_store_b64 v[40:41], v[27:28], off
	s_and_not1_b32 exec_lo, exec_lo, s43
	s_cbranch_execnz .LBB16_51
.LBB16_52:                              ;   in Loop: Header=BB16_19 Depth=2
	s_or_b32 exec_lo, exec_lo, s42
                                        ; implicit-def: $vgpr6
                                        ; implicit-def: $vgpr20
.LBB16_53:                              ;   in Loop: Header=BB16_19 Depth=2
	s_and_not1_saveexec_b32 s4, s41
	s_cbranch_execz .LBB16_18
; %bb.54:                               ;   in Loop: Header=BB16_19 Depth=2
	s_and_saveexec_b32 s41, s0
	s_cbranch_execz .LBB16_17
; %bb.55:                               ;   in Loop: Header=BB16_19 Depth=2
	v_ashrrev_i32_e32 v21, 31, v20
	v_mul_lo_u32 v23, v6, s8
	v_mul_lo_u32 v6, s21, v20
	v_mad_co_u64_u32 v[25:26], null, s20, v20, 0
	s_delay_alu instid0(VALU_DEP_4) | instskip(SKIP_1) | instid1(VALU_DEP_4)
	v_mul_lo_u32 v22, s20, v21
	s_mov_b32 s42, 0
	v_ashrrev_i32_e32 v24, 31, v23
	s_delay_alu instid0(VALU_DEP_2) | instskip(NEXT) | instid1(VALU_DEP_2)
	v_add3_u32 v26, v26, v22, v6
	v_lshlrev_b64_e32 v[40:41], 3, v[23:24]
	v_mov_b32_e32 v22, v4
	v_mov_b32_e32 v24, v31
	v_add_nc_u32_e32 v6, v23, v15
	v_lshlrev_b64_e32 v[25:26], 3, v[25:26]
	v_add_co_u32 v28, s3, v37, v40
	s_wait_alu 0xf1ff
	v_add_co_ci_u32_e64 v40, null, v38, v41, s3
	s_delay_alu instid0(VALU_DEP_3)
	v_add_co_u32 v41, s3, s22, v25
	s_wait_alu 0xf1ff
	v_add_co_ci_u32_e64 v42, null, s23, v26, s3
	v_dual_mov_b32 v27, v3 :: v_dual_mov_b32 v26, v2
	s_branch .LBB16_57
.LBB16_56:                              ;   in Loop: Header=BB16_57 Depth=3
	s_or_b32 exec_lo, exec_lo, s43
	v_ashrrev_i32_e32 v23, 31, v22
	v_add_nc_u32_e32 v24, s6, v24
	s_delay_alu instid0(VALU_DEP_2) | instskip(SKIP_3) | instid1(SALU_CYCLE_1)
	v_cmp_le_i64_e64 s3, s[20:21], v[22:23]
	v_dual_mov_b32 v27, v23 :: v_dual_mov_b32 v26, v22
	v_add_nc_u32_e32 v22, s34, v22
	s_or_b32 s42, s3, s42
	s_and_not1_b32 exec_lo, exec_lo, s42
	s_cbranch_execz .LBB16_17
.LBB16_57:                              ;   Parent Loop BB16_13 Depth=1
                                        ;     Parent Loop BB16_19 Depth=2
                                        ; =>    This Inner Loop Header: Depth=3
	v_ashrrev_i32_e32 v25, 31, v24
	s_mov_b32 s43, exec_lo
	s_delay_alu instid0(VALU_DEP_1) | instskip(NEXT) | instid1(VALU_DEP_1)
	v_lshlrev_b64_e32 v[43:44], 3, v[24:25]
	v_add_co_u32 v43, s3, v28, v43
	s_wait_alu 0xf1ff
	s_delay_alu instid0(VALU_DEP_2)
	v_add_co_ci_u32_e64 v44, null, v40, v44, s3
	global_load_b64 v[43:44], v[43:44], off
	s_wait_loadcnt 0x0
	v_cmpx_eq_u64_e64 v[43:44], v[20:21]
	s_cbranch_execz .LBB16_56
; %bb.58:                               ;   in Loop: Header=BB16_57 Depth=3
	v_add_nc_u32_e32 v43, v6, v24
	v_lshlrev_b64_e32 v[25:26], 3, v[26:27]
	s_delay_alu instid0(VALU_DEP_2) | instskip(NEXT) | instid1(VALU_DEP_1)
	v_ashrrev_i32_e32 v44, 31, v43
	v_lshlrev_b64_e32 v[43:44], 3, v[43:44]
	s_delay_alu instid0(VALU_DEP_1) | instskip(SKIP_1) | instid1(VALU_DEP_2)
	v_add_co_u32 v43, s3, s24, v43
	s_wait_alu 0xf1ff
	v_add_co_ci_u32_e64 v44, null, s25, v44, s3
	v_add_co_u32 v25, s3, v41, v25
	s_wait_alu 0xf1ff
	v_add_co_ci_u32_e64 v26, null, v42, v26, s3
	global_load_b64 v[43:44], v[43:44], off
	s_wait_loadcnt 0x0
	global_store_b64 v[25:26], v[43:44], off
	s_branch .LBB16_56
.LBB16_59:
	s_endpgm
.LBB16_60:
                                        ; implicit-def: $sgpr26_sgpr27
	s_branch .LBB16_5
.LBB16_61:
                                        ; implicit-def: $sgpr34_sgpr35
	s_branch .LBB16_8
	.section	.rodata,"a",@progbits
	.p2align	6, 0x0
	.amdhsa_kernel _ZN2at6native12_GLOBAL__N_122max_pool_backward_nhwcIddEEvPKT_PKlillliiiiiiiiiiiiiiiPS3_
		.amdhsa_group_segment_fixed_size 0
		.amdhsa_private_segment_fixed_size 0
		.amdhsa_kernarg_size 376
		.amdhsa_user_sgpr_count 2
		.amdhsa_user_sgpr_dispatch_ptr 0
		.amdhsa_user_sgpr_queue_ptr 0
		.amdhsa_user_sgpr_kernarg_segment_ptr 1
		.amdhsa_user_sgpr_dispatch_id 0
		.amdhsa_user_sgpr_private_segment_size 0
		.amdhsa_wavefront_size32 1
		.amdhsa_uses_dynamic_stack 0
		.amdhsa_enable_private_segment 0
		.amdhsa_system_sgpr_workgroup_id_x 1
		.amdhsa_system_sgpr_workgroup_id_y 1
		.amdhsa_system_sgpr_workgroup_id_z 1
		.amdhsa_system_sgpr_workgroup_info 0
		.amdhsa_system_vgpr_workitem_id 2
		.amdhsa_next_free_vgpr 51
		.amdhsa_next_free_sgpr 52
		.amdhsa_reserve_vcc 1
		.amdhsa_float_round_mode_32 0
		.amdhsa_float_round_mode_16_64 0
		.amdhsa_float_denorm_mode_32 3
		.amdhsa_float_denorm_mode_16_64 3
		.amdhsa_fp16_overflow 0
		.amdhsa_workgroup_processor_mode 1
		.amdhsa_memory_ordered 1
		.amdhsa_forward_progress 1
		.amdhsa_inst_pref_size 41
		.amdhsa_round_robin_scheduling 0
		.amdhsa_exception_fp_ieee_invalid_op 0
		.amdhsa_exception_fp_denorm_src 0
		.amdhsa_exception_fp_ieee_div_zero 0
		.amdhsa_exception_fp_ieee_overflow 0
		.amdhsa_exception_fp_ieee_underflow 0
		.amdhsa_exception_fp_ieee_inexact 0
		.amdhsa_exception_int_div_zero 0
	.end_amdhsa_kernel
	.section	.text._ZN2at6native12_GLOBAL__N_122max_pool_backward_nhwcIddEEvPKT_PKlillliiiiiiiiiiiiiiiPS3_,"axG",@progbits,_ZN2at6native12_GLOBAL__N_122max_pool_backward_nhwcIddEEvPKT_PKlillliiiiiiiiiiiiiiiPS3_,comdat
.Lfunc_end16:
	.size	_ZN2at6native12_GLOBAL__N_122max_pool_backward_nhwcIddEEvPKT_PKlillliiiiiiiiiiiiiiiPS3_, .Lfunc_end16-_ZN2at6native12_GLOBAL__N_122max_pool_backward_nhwcIddEEvPKT_PKlillliiiiiiiiiiiiiiiPS3_
                                        ; -- End function
	.set _ZN2at6native12_GLOBAL__N_122max_pool_backward_nhwcIddEEvPKT_PKlillliiiiiiiiiiiiiiiPS3_.num_vgpr, 51
	.set _ZN2at6native12_GLOBAL__N_122max_pool_backward_nhwcIddEEvPKT_PKlillliiiiiiiiiiiiiiiPS3_.num_agpr, 0
	.set _ZN2at6native12_GLOBAL__N_122max_pool_backward_nhwcIddEEvPKT_PKlillliiiiiiiiiiiiiiiPS3_.numbered_sgpr, 52
	.set _ZN2at6native12_GLOBAL__N_122max_pool_backward_nhwcIddEEvPKT_PKlillliiiiiiiiiiiiiiiPS3_.num_named_barrier, 0
	.set _ZN2at6native12_GLOBAL__N_122max_pool_backward_nhwcIddEEvPKT_PKlillliiiiiiiiiiiiiiiPS3_.private_seg_size, 0
	.set _ZN2at6native12_GLOBAL__N_122max_pool_backward_nhwcIddEEvPKT_PKlillliiiiiiiiiiiiiiiPS3_.uses_vcc, 1
	.set _ZN2at6native12_GLOBAL__N_122max_pool_backward_nhwcIddEEvPKT_PKlillliiiiiiiiiiiiiiiPS3_.uses_flat_scratch, 0
	.set _ZN2at6native12_GLOBAL__N_122max_pool_backward_nhwcIddEEvPKT_PKlillliiiiiiiiiiiiiiiPS3_.has_dyn_sized_stack, 0
	.set _ZN2at6native12_GLOBAL__N_122max_pool_backward_nhwcIddEEvPKT_PKlillliiiiiiiiiiiiiiiPS3_.has_recursion, 0
	.set _ZN2at6native12_GLOBAL__N_122max_pool_backward_nhwcIddEEvPKT_PKlillliiiiiiiiiiiiiiiPS3_.has_indirect_call, 0
	.section	.AMDGPU.csdata,"",@progbits
; Kernel info:
; codeLenInByte = 5200
; TotalNumSgprs: 54
; NumVgprs: 51
; ScratchSize: 0
; MemoryBound: 0
; FloatMode: 240
; IeeeMode: 1
; LDSByteSize: 0 bytes/workgroup (compile time only)
; SGPRBlocks: 0
; VGPRBlocks: 6
; NumSGPRsForWavesPerEU: 54
; NumVGPRsForWavesPerEU: 51
; Occupancy: 16
; WaveLimiterHint : 0
; COMPUTE_PGM_RSRC2:SCRATCH_EN: 0
; COMPUTE_PGM_RSRC2:USER_SGPR: 2
; COMPUTE_PGM_RSRC2:TRAP_HANDLER: 0
; COMPUTE_PGM_RSRC2:TGID_X_EN: 1
; COMPUTE_PGM_RSRC2:TGID_Y_EN: 1
; COMPUTE_PGM_RSRC2:TGID_Z_EN: 1
; COMPUTE_PGM_RSRC2:TIDIG_COMP_CNT: 2
	.section	.text._ZN2at6native12_GLOBAL__N_122max_pool_backward_nchwIddiEEvPKT_PKlT1_S8_S8_S8_S8_S8_iiiiiiiiPS3_,"axG",@progbits,_ZN2at6native12_GLOBAL__N_122max_pool_backward_nchwIddiEEvPKT_PKlT1_S8_S8_S8_S8_S8_iiiiiiiiPS3_,comdat
	.globl	_ZN2at6native12_GLOBAL__N_122max_pool_backward_nchwIddiEEvPKT_PKlT1_S8_S8_S8_S8_S8_iiiiiiiiPS3_ ; -- Begin function _ZN2at6native12_GLOBAL__N_122max_pool_backward_nchwIddiEEvPKT_PKlT1_S8_S8_S8_S8_S8_iiiiiiiiPS3_
	.p2align	8
	.type	_ZN2at6native12_GLOBAL__N_122max_pool_backward_nchwIddiEEvPKT_PKlT1_S8_S8_S8_S8_S8_iiiiiiiiPS3_,@function
_ZN2at6native12_GLOBAL__N_122max_pool_backward_nchwIddiEEvPKT_PKlT1_S8_S8_S8_S8_S8_iiiiiiiiPS3_: ; @_ZN2at6native12_GLOBAL__N_122max_pool_backward_nchwIddiEEvPKT_PKlT1_S8_S8_S8_S8_S8_iiiiiiiiPS3_
; %bb.0:
	s_clause 0x1
	s_load_b32 s2, s[0:1], 0x5c
	s_load_b256 s[4:11], s[0:1], 0x10
	v_mov_b32_e32 v1, 0
	s_wait_kmcnt 0x0
	s_and_b32 s35, s2, 0xffff
	s_mul_i32 s2, s7, s6
	s_delay_alu instid0(VALU_DEP_1)
	v_mad_co_u64_u32 v[0:1], null, s35, ttmp9, v[0:1]
	s_ashr_i32 s3, s2, 31
	s_mov_b32 s6, exec_lo
	v_cmpx_gt_i64_e64 s[2:3], v[0:1]
	s_cbranch_execz .LBB17_23
; %bb.1:
	s_load_b256 s[12:19], s[0:1], 0x30
	s_add_co_i32 s10, s10, -1
	s_add_co_i32 s11, s11, -1
	s_and_b32 s6, ttmp7, 0xffff
	s_wait_kmcnt 0x0
	s_add_nc_u64 s[18:19], s[0:1], 0x50
	s_load_b128 s[20:23], s[0:1], 0x0
	s_load_b32 s36, s[18:19], 0x0
	s_mul_i32 s38, s6, s5
	s_mul_i32 s29, s9, s8
	s_mov_b32 s28, 0
	s_mul_i32 s16, s16, s10
	s_mul_i32 s17, s17, s11
	s_not_b32 s24, s16
	s_not_b32 s25, s17
	s_cmp_lt_i32 s6, s4
	s_load_b64 s[10:11], s[0:1], 0x48
	s_cselect_b32 s26, -1, 0
	s_lshr_b32 s27, ttmp7, 16
	s_wait_kmcnt 0x0
	s_mul_i32 s35, s36, s35
	s_cmp_lt_i32 s27, s5
	s_cselect_b32 s30, -1, 0
	s_abs_i32 s31, s7
	s_abs_i32 s33, s12
	;; [unrolled: 1-line block ×3, first 2 shown]
	s_cvt_f32_u32 s0, s31
	s_cvt_f32_u32 s1, s33
	s_wait_alu 0xfffe
	s_cvt_f32_u32 s37, s34
	s_sub_co_i32 s39, 0, s31
	v_rcp_iflag_f32_e32 v2, s0
	v_rcp_iflag_f32_e32 v3, s1
	;; [unrolled: 1-line block ×3, first 2 shown]
	s_add_co_i32 s0, s27, s38
	s_sub_co_i32 s40, 0, s33
	s_sub_co_i32 s41, 0, s34
	s_ashr_i32 s36, s7, 31
	s_ashr_i32 s12, s12, 31
	;; [unrolled: 1-line block ×3, first 2 shown]
	s_delay_alu instid0(TRANS32_DEP_3) | instskip(NEXT) | instid1(TRANS32_DEP_2)
	v_readfirstlane_b32 s1, v2
	v_readfirstlane_b32 s37, v3
	s_delay_alu instid0(TRANS32_DEP_1)
	v_readfirstlane_b32 s38, v4
	s_mul_f32 s1, s1, 0x4f7ffffe
	s_mul_f32 s37, s37, 0x4f7ffffe
	;; [unrolled: 1-line block ×3, first 2 shown]
	s_wait_alu 0xfffe
	s_cvt_u32_f32 s1, s1
	s_cvt_u32_f32 s42, s37
	;; [unrolled: 1-line block ×3, first 2 shown]
	s_mul_i32 s37, s8, s0
	s_wait_alu 0xfffe
	s_mul_i32 s39, s39, s1
	s_mul_i32 s40, s40, s42
	s_mul_i32 s41, s41, s43
	s_mul_hi_u32 s0, s1, s39
	s_mul_hi_u32 s39, s42, s40
	;; [unrolled: 1-line block ×3, first 2 shown]
	s_wait_alu 0xfffe
	s_add_co_i32 s38, s1, s0
	s_add_co_i32 s39, s42, s39
	;; [unrolled: 1-line block ×3, first 2 shown]
	s_mul_i32 s41, s29, s5
	s_branch .LBB17_3
.LBB17_2:                               ;   in Loop: Header=BB17_3 Depth=1
	v_add_co_u32 v0, vcc_lo, v0, s35
	s_wait_alu 0xfffd
	v_add_co_ci_u32_e64 v1, null, 0, v1, vcc_lo
	s_delay_alu instid0(VALU_DEP_1) | instskip(SKIP_1) | instid1(SALU_CYCLE_1)
	v_cmp_le_i64_e32 vcc_lo, s[2:3], v[0:1]
	s_or_b32 s28, vcc_lo, s28
	s_and_not1_b32 exec_lo, exec_lo, s28
	s_cbranch_execz .LBB17_23
.LBB17_3:                               ; =>This Loop Header: Depth=1
                                        ;     Child Loop BB17_10 Depth 2
                                        ;       Child Loop BB17_14 Depth 3
                                        ;         Child Loop BB17_18 Depth 4
                                        ;           Child Loop BB17_21 Depth 5
	v_sub_nc_u32_e32 v2, 0, v0
	s_mov_b32 s0, exec_lo
	v_mov_b32_e32 v9, 0
	s_delay_alu instid0(VALU_DEP_2) | instskip(NEXT) | instid1(VALU_DEP_1)
	v_max_i32_e32 v2, v0, v2
	v_mul_hi_u32 v3, v2, s38
	s_delay_alu instid0(VALU_DEP_1) | instskip(NEXT) | instid1(VALU_DEP_1)
	v_mul_lo_u32 v4, v3, s31
	v_sub_nc_u32_e32 v2, v2, v4
	v_add_nc_u32_e32 v4, 1, v3
	s_delay_alu instid0(VALU_DEP_2) | instskip(SKIP_2) | instid1(VALU_DEP_2)
	v_subrev_nc_u32_e32 v5, s31, v2
	v_cmp_le_u32_e32 vcc_lo, s31, v2
	s_wait_alu 0xfffd
	v_dual_cndmask_b32 v3, v3, v4 :: v_dual_cndmask_b32 v2, v2, v5
	v_ashrrev_i32_e32 v4, 31, v0
	s_delay_alu instid0(VALU_DEP_2) | instskip(NEXT) | instid1(VALU_DEP_3)
	v_add_nc_u32_e32 v5, 1, v3
	v_cmp_le_u32_e32 vcc_lo, s31, v2
	s_delay_alu instid0(VALU_DEP_3) | instskip(SKIP_1) | instid1(VALU_DEP_3)
	v_xor_b32_e32 v4, s36, v4
	s_wait_alu 0xfffd
	v_cndmask_b32_e32 v2, v3, v5, vcc_lo
	s_delay_alu instid0(VALU_DEP_1) | instskip(NEXT) | instid1(VALU_DEP_1)
	v_xor_b32_e32 v2, v2, v4
	v_sub_nc_u32_e32 v4, v2, v4
	s_delay_alu instid0(VALU_DEP_1) | instskip(NEXT) | instid1(VALU_DEP_1)
	v_dual_mov_b32 v2, 0 :: v_dual_add_nc_u32 v3, s14, v4
	v_cmpx_lt_i32_e64 s16, v3
	s_cbranch_execz .LBB17_5
; %bb.4:                                ;   in Loop: Header=BB17_3 Depth=1
	v_add_nc_u32_e32 v5, s24, v3
	s_delay_alu instid0(VALU_DEP_1) | instskip(NEXT) | instid1(VALU_DEP_1)
	v_sub_nc_u32_e32 v6, 0, v5
	v_max_i32_e32 v6, v5, v6
	s_delay_alu instid0(VALU_DEP_1) | instskip(NEXT) | instid1(VALU_DEP_1)
	v_mul_hi_u32 v7, v6, s39
	v_mul_lo_u32 v8, v7, s33
	s_delay_alu instid0(VALU_DEP_1) | instskip(SKIP_1) | instid1(VALU_DEP_2)
	v_sub_nc_u32_e32 v6, v6, v8
	v_add_nc_u32_e32 v8, 1, v7
	v_subrev_nc_u32_e32 v9, s33, v6
	v_cmp_le_u32_e32 vcc_lo, s33, v6
	s_wait_alu 0xfffd
	s_delay_alu instid0(VALU_DEP_2) | instskip(SKIP_1) | instid1(VALU_DEP_2)
	v_dual_cndmask_b32 v7, v7, v8 :: v_dual_cndmask_b32 v6, v6, v9
	v_ashrrev_i32_e32 v5, 31, v5
	v_add_nc_u32_e32 v8, 1, v7
	s_delay_alu instid0(VALU_DEP_3) | instskip(NEXT) | instid1(VALU_DEP_3)
	v_cmp_le_u32_e32 vcc_lo, s33, v6
	v_xor_b32_e32 v5, s12, v5
	s_wait_alu 0xfffd
	s_delay_alu instid0(VALU_DEP_3) | instskip(NEXT) | instid1(VALU_DEP_1)
	v_cndmask_b32_e32 v6, v7, v8, vcc_lo
	v_xor_b32_e32 v6, v6, v5
	s_delay_alu instid0(VALU_DEP_1) | instskip(NEXT) | instid1(VALU_DEP_1)
	v_sub_nc_u32_e32 v5, v6, v5
	v_add_nc_u32_e32 v9, 1, v5
.LBB17_5:                               ;   in Loop: Header=BB17_3 Depth=1
	s_wait_alu 0xfffe
	s_or_b32 exec_lo, exec_lo, s0
	v_mul_lo_u32 v4, v4, s7
	s_mov_b32 s0, exec_lo
	s_delay_alu instid0(VALU_DEP_1) | instskip(NEXT) | instid1(VALU_DEP_1)
	v_sub_nc_u32_e32 v4, v0, v4
	v_add_nc_u32_e32 v4, s15, v4
	s_delay_alu instid0(VALU_DEP_1)
	v_cmpx_lt_i32_e64 s17, v4
	s_cbranch_execz .LBB17_7
; %bb.6:                                ;   in Loop: Header=BB17_3 Depth=1
	v_add_nc_u32_e32 v2, s25, v4
	s_delay_alu instid0(VALU_DEP_1) | instskip(NEXT) | instid1(VALU_DEP_1)
	v_sub_nc_u32_e32 v5, 0, v2
	v_max_i32_e32 v5, v2, v5
	s_delay_alu instid0(VALU_DEP_1) | instskip(NEXT) | instid1(VALU_DEP_1)
	v_mul_hi_u32 v6, v5, s40
	v_mul_lo_u32 v7, v6, s34
	s_delay_alu instid0(VALU_DEP_1) | instskip(SKIP_1) | instid1(VALU_DEP_2)
	v_sub_nc_u32_e32 v5, v5, v7
	v_add_nc_u32_e32 v7, 1, v6
	v_subrev_nc_u32_e32 v8, s34, v5
	v_cmp_le_u32_e32 vcc_lo, s34, v5
	s_wait_alu 0xfffd
	s_delay_alu instid0(VALU_DEP_2) | instskip(NEXT) | instid1(VALU_DEP_1)
	v_dual_cndmask_b32 v6, v6, v7 :: v_dual_cndmask_b32 v5, v5, v8
	v_add_nc_u32_e32 v7, 1, v6
	s_delay_alu instid0(VALU_DEP_2) | instskip(SKIP_1) | instid1(VALU_DEP_2)
	v_cmp_le_u32_e32 vcc_lo, s34, v5
	s_wait_alu 0xfffd
	v_cndmask_b32_e32 v5, v6, v7, vcc_lo
	v_ashrrev_i32_e32 v2, 31, v2
	s_delay_alu instid0(VALU_DEP_1) | instskip(NEXT) | instid1(VALU_DEP_1)
	v_xor_b32_e32 v2, s13, v2
	v_xor_b32_e32 v5, v5, v2
	s_delay_alu instid0(VALU_DEP_1) | instskip(NEXT) | instid1(VALU_DEP_1)
	v_sub_nc_u32_e32 v2, v5, v2
	v_add_nc_u32_e32 v2, 1, v2
.LBB17_7:                               ;   in Loop: Header=BB17_3 Depth=1
	s_wait_alu 0xfffe
	s_or_b32 exec_lo, exec_lo, s0
	s_delay_alu instid0(SALU_CYCLE_1)
	s_and_not1_b32 vcc_lo, exec_lo, s26
	s_wait_alu 0xfffe
	s_cbranch_vccnz .LBB17_2
; %bb.8:                                ;   in Loop: Header=BB17_3 Depth=1
	v_sub_nc_u32_e32 v5, 0, v4
	v_sub_nc_u32_e32 v6, 0, v3
	s_load_b32 s42, s[18:19], 0x4
	s_mov_b32 s44, s6
	s_delay_alu instid0(VALU_DEP_2) | instskip(NEXT) | instid1(VALU_DEP_2)
	v_max_i32_e32 v5, v4, v5
	v_max_i32_e32 v6, v3, v6
	v_ashrrev_i32_e32 v4, 31, v4
	v_ashrrev_i32_e32 v3, 31, v3
	s_delay_alu instid0(VALU_DEP_4) | instskip(NEXT) | instid1(VALU_DEP_4)
	v_mul_hi_u32 v7, v5, s40
	v_mul_hi_u32 v8, v6, s39
	s_delay_alu instid0(VALU_DEP_4) | instskip(NEXT) | instid1(VALU_DEP_4)
	v_xor_b32_e32 v4, s13, v4
	v_xor_b32_e32 v3, s12, v3
	s_delay_alu instid0(VALU_DEP_4) | instskip(NEXT) | instid1(VALU_DEP_4)
	v_mul_lo_u32 v10, v7, s34
	v_mul_lo_u32 v11, v8, s33
	s_wait_kmcnt 0x0
	s_mul_i32 s43, s41, s42
	s_delay_alu instid0(VALU_DEP_2) | instskip(NEXT) | instid1(VALU_DEP_2)
	v_sub_nc_u32_e32 v5, v5, v10
	v_sub_nc_u32_e32 v6, v6, v11
	s_delay_alu instid0(VALU_DEP_2) | instskip(NEXT) | instid1(VALU_DEP_2)
	v_cmp_le_u32_e64 s0, s34, v5
	v_cmp_le_u32_e32 vcc_lo, s33, v6
	v_add_nc_u32_e32 v11, 1, v7
	v_subrev_nc_u32_e32 v13, s33, v6
	v_subrev_nc_u32_e32 v12, s34, v5
	s_wait_alu 0xf1ff
	s_delay_alu instid0(VALU_DEP_3) | instskip(SKIP_3) | instid1(VALU_DEP_3)
	v_cndmask_b32_e64 v7, v7, v11, s0
	s_wait_alu 0xfffd
	v_cndmask_b32_e32 v6, v6, v13, vcc_lo
	v_cndmask_b32_e64 v5, v5, v12, s0
	v_add_nc_u32_e32 v11, 1, v7
	v_add_nc_u32_e32 v10, 1, v8
	s_delay_alu instid0(VALU_DEP_1) | instskip(SKIP_1) | instid1(VALU_DEP_2)
	v_cndmask_b32_e32 v8, v8, v10, vcc_lo
	v_cmp_le_u32_e32 vcc_lo, s33, v6
	v_add_nc_u32_e32 v10, 1, v8
	s_wait_alu 0xfffd
	s_delay_alu instid0(VALU_DEP_1) | instskip(SKIP_1) | instid1(VALU_DEP_2)
	v_cndmask_b32_e32 v6, v8, v10, vcc_lo
	v_cmp_le_u32_e32 vcc_lo, s34, v5
	v_xor_b32_e32 v6, v6, v3
	s_wait_alu 0xfffd
	v_cndmask_b32_e32 v5, v7, v11, vcc_lo
	s_delay_alu instid0(VALU_DEP_2) | instskip(NEXT) | instid1(VALU_DEP_2)
	v_sub_nc_u32_e32 v3, v6, v3
	v_xor_b32_e32 v5, v5, v4
	s_delay_alu instid0(VALU_DEP_2) | instskip(NEXT) | instid1(VALU_DEP_2)
	v_add_nc_u32_e32 v3, 1, v3
	v_sub_nc_u32_e32 v4, v5, v4
	v_add_nc_u32_e32 v5, s37, v9
	s_delay_alu instid0(VALU_DEP_3) | instskip(NEXT) | instid1(VALU_DEP_3)
	v_min_i32_e32 v10, s8, v3
	v_add_nc_u32_e32 v4, 1, v4
	s_delay_alu instid0(VALU_DEP_2) | instskip(NEXT) | instid1(VALU_DEP_2)
	v_cmp_lt_i32_e64 s0, v9, v10
	v_min_i32_e32 v11, s9, v4
	v_mad_co_u64_u32 v[3:4], null, s9, v5, v[2:3]
	s_delay_alu instid0(VALU_DEP_2)
	v_cmp_lt_i32_e64 s1, v2, v11
	s_branch .LBB17_10
.LBB17_9:                               ;   in Loop: Header=BB17_10 Depth=2
	s_delay_alu instid0(VALU_DEP_1) | instskip(SKIP_1) | instid1(SALU_CYCLE_1)
	v_add_nc_u32_e32 v3, s43, v3
	s_add_co_i32 s44, s42, s44
	s_cmp_ge_i32 s44, s4
	s_cbranch_scc1 .LBB17_2
.LBB17_10:                              ;   Parent Loop BB17_3 Depth=1
                                        ; =>  This Loop Header: Depth=2
                                        ;       Child Loop BB17_14 Depth 3
                                        ;         Child Loop BB17_18 Depth 4
                                        ;           Child Loop BB17_21 Depth 5
	s_and_not1_b32 vcc_lo, exec_lo, s30
	s_wait_alu 0xfffe
	s_cbranch_vccnz .LBB17_9
; %bb.11:                               ;   in Loop: Header=BB17_10 Depth=2
	s_load_b32 s45, s[18:19], 0x8
	s_delay_alu instid0(VALU_DEP_1)
	v_mov_b32_e32 v12, v3
	s_mul_i32 s46, s44, s5
	s_mov_b32 s48, s27
	s_wait_kmcnt 0x0
	s_mul_i32 s47, s29, s45
	s_branch .LBB17_14
.LBB17_12:                              ;   in Loop: Header=BB17_14 Depth=3
	s_or_b32 exec_lo, exec_lo, s50
.LBB17_13:                              ;   in Loop: Header=BB17_14 Depth=3
	s_wait_alu 0xfffe
	s_or_b32 exec_lo, exec_lo, s49
	s_add_co_i32 s49, s48, s46
	v_add_nc_u32_e32 v12, s47, v12
	s_wait_alu 0xfffe
	v_mad_co_u64_u32 v[6:7], null, s2, s49, v[0:1]
	s_add_co_i32 s48, s45, s48
	s_wait_alu 0xfffe
	s_cmp_ge_i32 s48, s5
	v_ashrrev_i32_e32 v7, 31, v6
	s_delay_alu instid0(VALU_DEP_1) | instskip(NEXT) | instid1(VALU_DEP_1)
	v_lshlrev_b64_e32 v[6:7], 3, v[6:7]
	v_add_co_u32 v6, vcc_lo, s10, v6
	s_wait_alu 0xfffd
	s_delay_alu instid0(VALU_DEP_2)
	v_add_co_ci_u32_e64 v7, null, s11, v7, vcc_lo
	global_store_b64 v[6:7], v[4:5], off
	s_cbranch_scc1 .LBB17_9
.LBB17_14:                              ;   Parent Loop BB17_3 Depth=1
                                        ;     Parent Loop BB17_10 Depth=2
                                        ; =>    This Loop Header: Depth=3
                                        ;         Child Loop BB17_18 Depth 4
                                        ;           Child Loop BB17_21 Depth 5
	v_mov_b32_e32 v4, 0
	v_mov_b32_e32 v5, 0
	s_and_saveexec_b32 s49, s0
	s_cbranch_execz .LBB17_13
; %bb.15:                               ;   in Loop: Header=BB17_14 Depth=3
	v_dual_mov_b32 v4, 0 :: v_dual_mov_b32 v13, v12
	v_dual_mov_b32 v5, 0 :: v_dual_mov_b32 v14, v9
	s_mov_b32 s50, 0
	s_branch .LBB17_18
.LBB17_16:                              ;   in Loop: Header=BB17_18 Depth=4
	s_or_b32 exec_lo, exec_lo, s52
.LBB17_17:                              ;   in Loop: Header=BB17_18 Depth=4
	s_delay_alu instid0(SALU_CYCLE_1) | instskip(SKIP_2) | instid1(VALU_DEP_2)
	s_or_b32 exec_lo, exec_lo, s51
	v_add_nc_u32_e32 v14, 1, v14
	v_add_nc_u32_e32 v13, s9, v13
	v_cmp_ge_i32_e32 vcc_lo, v14, v10
	s_or_b32 s50, vcc_lo, s50
	s_delay_alu instid0(SALU_CYCLE_1)
	s_and_not1_b32 exec_lo, exec_lo, s50
	s_cbranch_execz .LBB17_12
.LBB17_18:                              ;   Parent Loop BB17_3 Depth=1
                                        ;     Parent Loop BB17_10 Depth=2
                                        ;       Parent Loop BB17_14 Depth=3
                                        ; =>      This Loop Header: Depth=4
                                        ;           Child Loop BB17_21 Depth 5
	s_and_saveexec_b32 s51, s1
	s_cbranch_execz .LBB17_17
; %bb.19:                               ;   in Loop: Header=BB17_18 Depth=4
	v_dual_mov_b32 v6, v13 :: v_dual_mov_b32 v15, v2
	s_mov_b32 s52, 0
	s_branch .LBB17_21
.LBB17_20:                              ;   in Loop: Header=BB17_21 Depth=5
	s_or_b32 exec_lo, exec_lo, s53
	v_add_nc_u32_e32 v15, 1, v15
	v_add_nc_u32_e32 v6, 1, v6
	s_delay_alu instid0(VALU_DEP_2) | instskip(SKIP_1) | instid1(SALU_CYCLE_1)
	v_cmp_ge_i32_e32 vcc_lo, v15, v11
	s_or_b32 s52, vcc_lo, s52
	s_and_not1_b32 exec_lo, exec_lo, s52
	s_cbranch_execz .LBB17_16
.LBB17_21:                              ;   Parent Loop BB17_3 Depth=1
                                        ;     Parent Loop BB17_10 Depth=2
                                        ;       Parent Loop BB17_14 Depth=3
                                        ;         Parent Loop BB17_18 Depth=4
                                        ; =>        This Inner Loop Header: Depth=5
	s_delay_alu instid0(VALU_DEP_1) | instskip(SKIP_1) | instid1(VALU_DEP_1)
	v_ashrrev_i32_e32 v7, 31, v6
	s_mov_b32 s53, exec_lo
	v_lshlrev_b64_e32 v[7:8], 3, v[6:7]
	s_delay_alu instid0(VALU_DEP_1) | instskip(SKIP_1) | instid1(VALU_DEP_2)
	v_add_co_u32 v16, vcc_lo, s22, v7
	s_wait_alu 0xfffd
	v_add_co_ci_u32_e64 v17, null, s23, v8, vcc_lo
	global_load_b64 v[16:17], v[16:17], off
	s_wait_loadcnt 0x0
	v_cmpx_eq_u64_e64 v[16:17], v[0:1]
	s_cbranch_execz .LBB17_20
; %bb.22:                               ;   in Loop: Header=BB17_21 Depth=5
	v_add_co_u32 v7, vcc_lo, s20, v7
	s_wait_alu 0xfffd
	v_add_co_ci_u32_e64 v8, null, s21, v8, vcc_lo
	global_load_b64 v[7:8], v[7:8], off
	s_wait_loadcnt 0x0
	v_add_f64_e32 v[4:5], v[4:5], v[7:8]
	s_branch .LBB17_20
.LBB17_23:
	s_endpgm
	.section	.rodata,"a",@progbits
	.p2align	6, 0x0
	.amdhsa_kernel _ZN2at6native12_GLOBAL__N_122max_pool_backward_nchwIddiEEvPKT_PKlT1_S8_S8_S8_S8_S8_iiiiiiiiPS3_
		.amdhsa_group_segment_fixed_size 0
		.amdhsa_private_segment_fixed_size 0
		.amdhsa_kernarg_size 336
		.amdhsa_user_sgpr_count 2
		.amdhsa_user_sgpr_dispatch_ptr 0
		.amdhsa_user_sgpr_queue_ptr 0
		.amdhsa_user_sgpr_kernarg_segment_ptr 1
		.amdhsa_user_sgpr_dispatch_id 0
		.amdhsa_user_sgpr_private_segment_size 0
		.amdhsa_wavefront_size32 1
		.amdhsa_uses_dynamic_stack 0
		.amdhsa_enable_private_segment 0
		.amdhsa_system_sgpr_workgroup_id_x 1
		.amdhsa_system_sgpr_workgroup_id_y 1
		.amdhsa_system_sgpr_workgroup_id_z 1
		.amdhsa_system_sgpr_workgroup_info 0
		.amdhsa_system_vgpr_workitem_id 0
		.amdhsa_next_free_vgpr 18
		.amdhsa_next_free_sgpr 54
		.amdhsa_reserve_vcc 1
		.amdhsa_float_round_mode_32 0
		.amdhsa_float_round_mode_16_64 0
		.amdhsa_float_denorm_mode_32 3
		.amdhsa_float_denorm_mode_16_64 3
		.amdhsa_fp16_overflow 0
		.amdhsa_workgroup_processor_mode 1
		.amdhsa_memory_ordered 1
		.amdhsa_forward_progress 1
		.amdhsa_inst_pref_size 13
		.amdhsa_round_robin_scheduling 0
		.amdhsa_exception_fp_ieee_invalid_op 0
		.amdhsa_exception_fp_denorm_src 0
		.amdhsa_exception_fp_ieee_div_zero 0
		.amdhsa_exception_fp_ieee_overflow 0
		.amdhsa_exception_fp_ieee_underflow 0
		.amdhsa_exception_fp_ieee_inexact 0
		.amdhsa_exception_int_div_zero 0
	.end_amdhsa_kernel
	.section	.text._ZN2at6native12_GLOBAL__N_122max_pool_backward_nchwIddiEEvPKT_PKlT1_S8_S8_S8_S8_S8_iiiiiiiiPS3_,"axG",@progbits,_ZN2at6native12_GLOBAL__N_122max_pool_backward_nchwIddiEEvPKT_PKlT1_S8_S8_S8_S8_S8_iiiiiiiiPS3_,comdat
.Lfunc_end17:
	.size	_ZN2at6native12_GLOBAL__N_122max_pool_backward_nchwIddiEEvPKT_PKlT1_S8_S8_S8_S8_S8_iiiiiiiiPS3_, .Lfunc_end17-_ZN2at6native12_GLOBAL__N_122max_pool_backward_nchwIddiEEvPKT_PKlT1_S8_S8_S8_S8_S8_iiiiiiiiPS3_
                                        ; -- End function
	.set _ZN2at6native12_GLOBAL__N_122max_pool_backward_nchwIddiEEvPKT_PKlT1_S8_S8_S8_S8_S8_iiiiiiiiPS3_.num_vgpr, 18
	.set _ZN2at6native12_GLOBAL__N_122max_pool_backward_nchwIddiEEvPKT_PKlT1_S8_S8_S8_S8_S8_iiiiiiiiPS3_.num_agpr, 0
	.set _ZN2at6native12_GLOBAL__N_122max_pool_backward_nchwIddiEEvPKT_PKlT1_S8_S8_S8_S8_S8_iiiiiiiiPS3_.numbered_sgpr, 54
	.set _ZN2at6native12_GLOBAL__N_122max_pool_backward_nchwIddiEEvPKT_PKlT1_S8_S8_S8_S8_S8_iiiiiiiiPS3_.num_named_barrier, 0
	.set _ZN2at6native12_GLOBAL__N_122max_pool_backward_nchwIddiEEvPKT_PKlT1_S8_S8_S8_S8_S8_iiiiiiiiPS3_.private_seg_size, 0
	.set _ZN2at6native12_GLOBAL__N_122max_pool_backward_nchwIddiEEvPKT_PKlT1_S8_S8_S8_S8_S8_iiiiiiiiPS3_.uses_vcc, 1
	.set _ZN2at6native12_GLOBAL__N_122max_pool_backward_nchwIddiEEvPKT_PKlT1_S8_S8_S8_S8_S8_iiiiiiiiPS3_.uses_flat_scratch, 0
	.set _ZN2at6native12_GLOBAL__N_122max_pool_backward_nchwIddiEEvPKT_PKlT1_S8_S8_S8_S8_S8_iiiiiiiiPS3_.has_dyn_sized_stack, 0
	.set _ZN2at6native12_GLOBAL__N_122max_pool_backward_nchwIddiEEvPKT_PKlT1_S8_S8_S8_S8_S8_iiiiiiiiPS3_.has_recursion, 0
	.set _ZN2at6native12_GLOBAL__N_122max_pool_backward_nchwIddiEEvPKT_PKlT1_S8_S8_S8_S8_S8_iiiiiiiiPS3_.has_indirect_call, 0
	.section	.AMDGPU.csdata,"",@progbits
; Kernel info:
; codeLenInByte = 1584
; TotalNumSgprs: 56
; NumVgprs: 18
; ScratchSize: 0
; MemoryBound: 0
; FloatMode: 240
; IeeeMode: 1
; LDSByteSize: 0 bytes/workgroup (compile time only)
; SGPRBlocks: 0
; VGPRBlocks: 2
; NumSGPRsForWavesPerEU: 56
; NumVGPRsForWavesPerEU: 18
; Occupancy: 16
; WaveLimiterHint : 0
; COMPUTE_PGM_RSRC2:SCRATCH_EN: 0
; COMPUTE_PGM_RSRC2:USER_SGPR: 2
; COMPUTE_PGM_RSRC2:TRAP_HANDLER: 0
; COMPUTE_PGM_RSRC2:TGID_X_EN: 1
; COMPUTE_PGM_RSRC2:TGID_Y_EN: 1
; COMPUTE_PGM_RSRC2:TGID_Z_EN: 1
; COMPUTE_PGM_RSRC2:TIDIG_COMP_CNT: 0
	.section	.text._ZN2at6native12_GLOBAL__N_122max_pool_backward_nchwIddlEEvPKT_PKlT1_S8_S8_S8_S8_S8_iiiiiiiiPS3_,"axG",@progbits,_ZN2at6native12_GLOBAL__N_122max_pool_backward_nchwIddlEEvPKT_PKlT1_S8_S8_S8_S8_S8_iiiiiiiiPS3_,comdat
	.globl	_ZN2at6native12_GLOBAL__N_122max_pool_backward_nchwIddlEEvPKT_PKlT1_S8_S8_S8_S8_S8_iiiiiiiiPS3_ ; -- Begin function _ZN2at6native12_GLOBAL__N_122max_pool_backward_nchwIddlEEvPKT_PKlT1_S8_S8_S8_S8_S8_iiiiiiiiPS3_
	.p2align	8
	.type	_ZN2at6native12_GLOBAL__N_122max_pool_backward_nchwIddlEEvPKT_PKlT1_S8_S8_S8_S8_S8_iiiiiiiiPS3_,@function
_ZN2at6native12_GLOBAL__N_122max_pool_backward_nchwIddlEEvPKT_PKlT1_S8_S8_S8_S8_S8_iiiiiiiiPS3_: ; @_ZN2at6native12_GLOBAL__N_122max_pool_backward_nchwIddlEEvPKT_PKlT1_S8_S8_S8_S8_S8_iiiiiiiiPS3_
; %bb.0:
	s_clause 0x1
	s_load_b32 s2, s[0:1], 0x74
	s_load_b512 s[4:19], s[0:1], 0x0
	v_mov_b32_e32 v2, 0
	s_mov_b32 s3, exec_lo
	s_delay_alu instid0(VALU_DEP_1) | instskip(SKIP_3) | instid1(VALU_DEP_1)
	v_mov_b32_e32 v1, v2
	s_wait_kmcnt 0x0
	s_and_b32 s2, s2, 0xffff
	s_mul_u64 s[12:13], s[14:15], s[12:13]
	v_mad_co_u64_u32 v[0:1], null, s2, ttmp9, v[0:1]
	s_delay_alu instid0(VALU_DEP_1)
	v_cmpx_gt_i64_e64 s[12:13], v[0:1]
	s_cbranch_execz .LBB18_43
; %bb.1:
	s_load_b256 s[20:27], s[0:1], 0x40
	s_add_nc_u64 s[28:29], s[0:1], 0x68
	s_load_b64 s[30:31], s[0:1], 0x60
	s_load_b32 s0, s[28:29], 0x0
	v_cvt_f32_u32_e32 v3, s14
	s_mov_b32 s35, 0
	s_and_b32 s34, ttmp7, 0xffff
	s_lshr_b32 s36, ttmp7, 16
	s_mov_b32 s37, s35
	v_rcp_iflag_f32_e32 v3, v3
	v_cmp_gt_i64_e64 s65, s[8:9], s[34:35]
	v_cmp_gt_i64_e64 s66, s[10:11], s[36:37]
	s_mov_b64 s[38:39], s[34:35]
	s_lshl_b64 s[46:47], s[18:19], 3
	s_ashr_i32 s48, s15, 31
	s_mov_b32 s68, 0
	s_wait_kmcnt 0x0
	s_mov_b32 s40, s22
	s_add_co_i32 s1, s20, -1
	v_cvt_f32_u32_e32 v4, s40
	s_add_co_i32 s3, s21, -1
	s_wait_alu 0xfffe
	s_mul_i32 s1, s26, s1
	s_mul_i32 s3, s27, s3
	s_ashr_i32 s33, s24, 31
	v_rcp_iflag_f32_e32 v4, v4
	v_mul_f32_e32 v3, 0x4f7ffffe, v3
	s_mov_b32 s62, s24
	s_ashr_i32 s41, s22, 31
	s_wait_alu 0xfffe
	s_add_co_i32 s22, s1, 1
	s_add_co_i32 s24, s3, 1
	s_mul_i32 s67, s0, s2
	s_mul_u64 s[0:1], s[10:11], s[34:35]
	s_mul_u64 s[2:3], s[18:19], s[16:17]
	s_wait_alu 0xfffe
	s_add_nc_u64 s[0:1], s[0:1], s[36:37]
	v_mul_f32_e32 v4, 0x4f7ffffe, v4
	v_cvt_u32_f32_e32 v34, v3
	s_mul_u64 s[42:43], s[2:3], s[10:11]
	s_ashr_i32 s63, s25, 31
	s_mov_b32 s64, s25
	v_cvt_u32_f32_e32 v35, v4
	s_ashr_i32 s21, s23, 31
	s_mov_b32 s20, s23
	s_ashr_i32 s23, s22, 31
	s_ashr_i32 s25, s24, 31
	s_wait_alu 0xfffe
	s_mul_u64 s[26:27], s[16:17], s[0:1]
	s_lshl_b64 s[42:43], s[42:43], 3
	s_lshl_b64 s[44:45], s[2:3], 3
	s_branch .LBB18_3
.LBB18_2:                               ;   in Loop: Header=BB18_3 Depth=1
	v_add_co_u32 v0, vcc_lo, v0, s67
	s_wait_alu 0xfffd
	v_add_co_ci_u32_e64 v1, null, 0, v1, vcc_lo
	s_delay_alu instid0(VALU_DEP_1) | instskip(SKIP_1) | instid1(SALU_CYCLE_1)
	v_cmp_le_i64_e32 vcc_lo, s[12:13], v[0:1]
	s_or_b32 s68, vcc_lo, s68
	s_and_not1_b32 exec_lo, exec_lo, s68
	s_cbranch_execz .LBB18_43
.LBB18_3:                               ; =>This Loop Header: Depth=1
                                        ;     Child Loop BB18_30 Depth 2
                                        ;       Child Loop BB18_34 Depth 3
                                        ;         Child Loop BB18_38 Depth 4
                                        ;           Child Loop BB18_41 Depth 5
	v_or_b32_e32 v3, s15, v1
                                        ; implicit-def: $vgpr8_vgpr9
	s_mov_b32 s0, exec_lo
	s_delay_alu instid0(VALU_DEP_1)
	v_cmpx_ne_u64_e32 0, v[2:3]
	s_wait_alu 0xfffe
	s_xor_b32 s1, exec_lo, s0
	s_cbranch_execz .LBB18_5
; %bb.4:                                ;   in Loop: Header=BB18_3 Depth=1
	s_mov_b32 s49, s48
	v_ashrrev_i32_e32 v9, 31, v1
	s_wait_alu 0xfffe
	s_add_nc_u64 s[2:3], s[14:15], s[48:49]
	s_wait_alu 0xfffe
	s_xor_b64 s[2:3], s[2:3], s[48:49]
	v_add_co_u32 v3, vcc_lo, v0, v9
	s_wait_alu 0xfffe
	s_cvt_f32_u32 s0, s2
	s_cvt_f32_u32 s34, s3
	s_sub_nc_u64 s[52:53], 0, s[2:3]
	s_wait_alu 0xfffd
	v_add_co_ci_u32_e64 v4, null, v1, v9, vcc_lo
	s_wait_alu 0xfffe
	s_fmamk_f32 s0, s34, 0x4f800000, s0
	v_xor_b32_e32 v10, v3, v9
	s_delay_alu instid0(VALU_DEP_2) | instskip(SKIP_2) | instid1(TRANS32_DEP_1)
	v_xor_b32_e32 v11, v4, v9
	s_wait_alu 0xfffe
	v_s_rcp_f32 s0, s0
	s_mul_f32 s0, s0, 0x5f7ffffc
	s_wait_alu 0xfffe
	s_delay_alu instid0(SALU_CYCLE_2) | instskip(SKIP_1) | instid1(SALU_CYCLE_2)
	s_mul_f32 s34, s0, 0x2f800000
	s_wait_alu 0xfffe
	s_trunc_f32 s34, s34
	s_wait_alu 0xfffe
	s_delay_alu instid0(SALU_CYCLE_2) | instskip(SKIP_2) | instid1(SALU_CYCLE_1)
	s_fmamk_f32 s0, s34, 0xcf800000, s0
	s_cvt_u32_f32 s51, s34
	s_wait_alu 0xfffe
	s_cvt_u32_f32 s50, s0
	s_wait_alu 0xfffe
	s_delay_alu instid0(SALU_CYCLE_2)
	s_mul_u64 s[54:55], s[52:53], s[50:51]
	s_wait_alu 0xfffe
	s_mul_hi_u32 s57, s50, s55
	s_mul_i32 s56, s50, s55
	s_mul_hi_u32 s34, s50, s54
	s_mul_i32 s49, s51, s54
	s_wait_alu 0xfffe
	s_add_nc_u64 s[56:57], s[34:35], s[56:57]
	s_mul_hi_u32 s0, s51, s54
	s_mul_hi_u32 s58, s51, s55
	s_add_co_u32 s34, s56, s49
	s_wait_alu 0xfffe
	s_add_co_ci_u32 s34, s57, s0
	s_mul_i32 s54, s51, s55
	s_add_co_ci_u32 s55, s58, 0
	s_wait_alu 0xfffe
	s_add_nc_u64 s[54:55], s[34:35], s[54:55]
	s_wait_alu 0xfffe
	s_add_co_u32 s50, s50, s54
	s_cselect_b32 s0, -1, 0
	s_wait_alu 0xfffe
	s_cmp_lg_u32 s0, 0
	s_add_co_ci_u32 s51, s51, s55
	s_wait_alu 0xfffe
	s_mul_u64 s[52:53], s[52:53], s[50:51]
	s_wait_alu 0xfffe
	s_mul_hi_u32 s55, s50, s53
	s_mul_i32 s54, s50, s53
	s_mul_hi_u32 s34, s50, s52
	s_mul_i32 s49, s51, s52
	s_wait_alu 0xfffe
	s_add_nc_u64 s[54:55], s[34:35], s[54:55]
	s_mul_hi_u32 s0, s51, s52
	s_mul_hi_u32 s56, s51, s53
	s_wait_alu 0xfffe
	s_add_co_u32 s34, s54, s49
	s_add_co_ci_u32 s34, s55, s0
	s_mul_i32 s52, s51, s53
	s_add_co_ci_u32 s53, s56, 0
	s_wait_alu 0xfffe
	s_add_nc_u64 s[52:53], s[34:35], s[52:53]
	s_wait_alu 0xfffe
	s_add_co_u32 s0, s50, s52
	s_cselect_b32 s34, -1, 0
	s_wait_alu 0xfffe
	v_mul_hi_u32 v12, v10, s0
	s_cmp_lg_u32 s34, 0
	v_mad_co_u64_u32 v[5:6], null, v11, s0, 0
	s_add_co_ci_u32 s34, s51, s53
	s_wait_alu 0xfffe
	v_mad_co_u64_u32 v[3:4], null, v10, s34, 0
	v_mad_co_u64_u32 v[7:8], null, v11, s34, 0
	s_delay_alu instid0(VALU_DEP_2) | instskip(SKIP_1) | instid1(VALU_DEP_3)
	v_add_co_u32 v3, vcc_lo, v12, v3
	s_wait_alu 0xfffd
	v_add_co_ci_u32_e64 v4, null, 0, v4, vcc_lo
	s_delay_alu instid0(VALU_DEP_2) | instskip(SKIP_1) | instid1(VALU_DEP_2)
	v_add_co_u32 v3, vcc_lo, v3, v5
	s_wait_alu 0xfffd
	v_add_co_ci_u32_e32 v3, vcc_lo, v4, v6, vcc_lo
	s_wait_alu 0xfffd
	v_add_co_ci_u32_e32 v4, vcc_lo, 0, v8, vcc_lo
	s_delay_alu instid0(VALU_DEP_2) | instskip(SKIP_1) | instid1(VALU_DEP_2)
	v_add_co_u32 v5, vcc_lo, v3, v7
	s_wait_alu 0xfffd
	v_add_co_ci_u32_e64 v6, null, 0, v4, vcc_lo
	s_delay_alu instid0(VALU_DEP_2) | instskip(SKIP_1) | instid1(VALU_DEP_3)
	v_mul_lo_u32 v7, s3, v5
	v_mad_co_u64_u32 v[3:4], null, s2, v5, 0
	v_mul_lo_u32 v8, s2, v6
	s_delay_alu instid0(VALU_DEP_2) | instskip(NEXT) | instid1(VALU_DEP_2)
	v_sub_co_u32 v3, vcc_lo, v10, v3
	v_add3_u32 v4, v4, v8, v7
	v_add_co_u32 v8, s0, v5, 2
	s_wait_alu 0xf1ff
	v_add_co_ci_u32_e64 v10, null, 0, v6, s0
	s_delay_alu instid0(VALU_DEP_3) | instskip(SKIP_3) | instid1(VALU_DEP_3)
	v_sub_nc_u32_e32 v7, v11, v4
	v_sub_co_u32 v12, s0, v3, s2
	s_wait_alu 0xfffd
	v_sub_co_ci_u32_e64 v4, null, v11, v4, vcc_lo
	v_subrev_co_ci_u32_e64 v7, null, s3, v7, vcc_lo
	s_delay_alu instid0(VALU_DEP_3) | instskip(SKIP_1) | instid1(VALU_DEP_2)
	v_cmp_le_u32_e32 vcc_lo, s2, v12
	s_wait_alu 0xf1ff
	v_subrev_co_ci_u32_e64 v7, null, 0, v7, s0
	s_wait_alu 0xfffd
	v_cndmask_b32_e64 v11, 0, -1, vcc_lo
	s_delay_alu instid0(VALU_DEP_2)
	v_cmp_le_u32_e32 vcc_lo, s3, v7
	s_wait_alu 0xfffd
	v_cndmask_b32_e64 v12, 0, -1, vcc_lo
	v_cmp_le_u32_e32 vcc_lo, s2, v3
	s_wait_alu 0xfffd
	v_cndmask_b32_e64 v3, 0, -1, vcc_lo
	;; [unrolled: 3-line block ×3, first 2 shown]
	v_cmp_eq_u32_e32 vcc_lo, s3, v7
	s_wait_alu 0xfffd
	v_cndmask_b32_e32 v7, v12, v11, vcc_lo
	v_add_co_u32 v11, vcc_lo, v5, 1
	s_wait_alu 0xfffd
	v_add_co_ci_u32_e64 v12, null, 0, v6, vcc_lo
	v_cmp_eq_u32_e32 vcc_lo, s3, v4
	s_wait_alu 0xfffd
	v_cndmask_b32_e32 v3, v13, v3, vcc_lo
	v_cmp_ne_u32_e32 vcc_lo, 0, v7
	v_xor_b32_e32 v7, s48, v9
	s_wait_alu 0xfffd
	v_cndmask_b32_e32 v4, v12, v10, vcc_lo
	v_cmp_ne_u32_e64 s0, 0, v3
	v_cndmask_b32_e32 v3, v11, v8, vcc_lo
	s_wait_alu 0xf1ff
	s_delay_alu instid0(VALU_DEP_2) | instskip(NEXT) | instid1(VALU_DEP_2)
	v_cndmask_b32_e64 v4, v6, v4, s0
	v_cndmask_b32_e64 v3, v5, v3, s0
	s_delay_alu instid0(VALU_DEP_2) | instskip(NEXT) | instid1(VALU_DEP_2)
	v_xor_b32_e32 v4, v4, v7
	v_xor_b32_e32 v3, v3, v7
	s_delay_alu instid0(VALU_DEP_1) | instskip(SKIP_1) | instid1(VALU_DEP_3)
	v_sub_co_u32 v8, vcc_lo, v3, v7
	s_wait_alu 0xfffd
	v_sub_co_ci_u32_e64 v9, null, v4, v7, vcc_lo
.LBB18_5:                               ;   in Loop: Header=BB18_3 Depth=1
	s_wait_alu 0xfffe
	s_and_not1_saveexec_b32 s0, s1
	s_cbranch_execz .LBB18_7
; %bb.6:                                ;   in Loop: Header=BB18_3 Depth=1
	s_sub_co_i32 s1, 0, s14
	v_mov_b32_e32 v9, v2
	s_wait_alu 0xfffe
	v_mul_lo_u32 v3, s1, v34
	s_delay_alu instid0(VALU_DEP_1) | instskip(NEXT) | instid1(VALU_DEP_1)
	v_mul_hi_u32 v3, v34, v3
	v_add_nc_u32_e32 v3, v34, v3
	s_delay_alu instid0(VALU_DEP_1) | instskip(NEXT) | instid1(VALU_DEP_1)
	v_mul_hi_u32 v3, v0, v3
	v_mul_lo_u32 v4, v3, s14
	v_add_nc_u32_e32 v5, 1, v3
	s_delay_alu instid0(VALU_DEP_2) | instskip(NEXT) | instid1(VALU_DEP_1)
	v_sub_nc_u32_e32 v4, v0, v4
	v_subrev_nc_u32_e32 v6, s14, v4
	v_cmp_le_u32_e32 vcc_lo, s14, v4
	s_wait_alu 0xfffd
	s_delay_alu instid0(VALU_DEP_2) | instskip(NEXT) | instid1(VALU_DEP_1)
	v_dual_cndmask_b32 v4, v4, v6 :: v_dual_cndmask_b32 v3, v3, v5
	v_cmp_le_u32_e32 vcc_lo, s14, v4
	s_delay_alu instid0(VALU_DEP_2) | instskip(SKIP_1) | instid1(VALU_DEP_1)
	v_add_nc_u32_e32 v5, 1, v3
	s_wait_alu 0xfffd
	v_cndmask_b32_e32 v8, v3, v5, vcc_lo
.LBB18_7:                               ;   in Loop: Header=BB18_3 Depth=1
	s_wait_alu 0xfffe
	s_or_b32 exec_lo, exec_lo, s0
	s_delay_alu instid0(VALU_DEP_1)
	v_add_co_u32 v10, vcc_lo, v8, s62
	v_mov_b32_e32 v4, 0
	s_wait_alu 0xfffd
	v_add_co_ci_u32_e64 v11, null, s33, v9, vcc_lo
	v_mov_b32_e32 v5, 0
	s_mov_b32 s1, exec_lo
	s_delay_alu instid0(VALU_DEP_2)
	v_cmpx_le_i64_e64 s[22:23], v[10:11]
	s_cbranch_execz .LBB18_13
; %bb.8:                                ;   in Loop: Header=BB18_3 Depth=1
	v_sub_co_u32 v6, vcc_lo, v10, s22
	s_wait_alu 0xfffd
	v_subrev_co_ci_u32_e64 v7, null, s23, v11, vcc_lo
                                        ; implicit-def: $vgpr4_vgpr5
	s_mov_b32 s0, exec_lo
	v_or_b32_e32 v3, s41, v7
	s_delay_alu instid0(VALU_DEP_1)
	v_cmpx_ne_u64_e32 0, v[2:3]
	s_wait_alu 0xfffe
	s_xor_b32 s49, exec_lo, s0
	s_cbranch_execz .LBB18_10
; %bb.9:                                ;   in Loop: Header=BB18_3 Depth=1
	s_ashr_i32 s2, s41, 31
	v_ashrrev_i32_e32 v14, 31, v7
	s_wait_alu 0xfffe
	s_mov_b32 s3, s2
	s_wait_alu 0xfffe
	s_add_nc_u64 s[50:51], s[40:41], s[2:3]
	v_add_co_u32 v3, vcc_lo, v6, v14
	s_wait_alu 0xfffe
	s_xor_b64 s[50:51], s[50:51], s[2:3]
	s_wait_alu 0xfffd
	v_add_co_ci_u32_e64 v4, null, v7, v14, vcc_lo
	s_wait_alu 0xfffe
	s_cvt_f32_u32 s0, s50
	s_cvt_f32_u32 s3, s51
	s_sub_nc_u64 s[54:55], 0, s[50:51]
	v_xor_b32_e32 v7, v3, v14
	v_xor_b32_e32 v15, v4, v14
	s_wait_alu 0xfffe
	s_fmamk_f32 s0, s3, 0x4f800000, s0
	s_wait_alu 0xfffe
	s_delay_alu instid0(SALU_CYCLE_2) | instskip(NEXT) | instid1(TRANS32_DEP_1)
	v_s_rcp_f32 s0, s0
	s_mul_f32 s0, s0, 0x5f7ffffc
	s_wait_alu 0xfffe
	s_delay_alu instid0(SALU_CYCLE_2) | instskip(SKIP_1) | instid1(SALU_CYCLE_2)
	s_mul_f32 s3, s0, 0x2f800000
	s_wait_alu 0xfffe
	s_trunc_f32 s3, s3
	s_wait_alu 0xfffe
	s_delay_alu instid0(SALU_CYCLE_2) | instskip(SKIP_2) | instid1(SALU_CYCLE_1)
	s_fmamk_f32 s0, s3, 0xcf800000, s0
	s_cvt_u32_f32 s53, s3
	s_wait_alu 0xfffe
	s_cvt_u32_f32 s52, s0
	s_wait_alu 0xfffe
	s_delay_alu instid0(SALU_CYCLE_2) | instskip(NEXT) | instid1(SALU_CYCLE_1)
	s_mul_u64 s[56:57], s[54:55], s[52:53]
	s_mul_hi_u32 s59, s52, s57
	s_mul_i32 s58, s52, s57
	s_mul_hi_u32 s34, s52, s56
	s_mul_i32 s3, s53, s56
	s_wait_alu 0xfffe
	s_add_nc_u64 s[58:59], s[34:35], s[58:59]
	s_mul_hi_u32 s0, s53, s56
	s_mul_hi_u32 s60, s53, s57
	s_wait_alu 0xfffe
	s_add_co_u32 s3, s58, s3
	s_add_co_ci_u32 s34, s59, s0
	s_mul_i32 s56, s53, s57
	s_add_co_ci_u32 s57, s60, 0
	s_wait_alu 0xfffe
	s_add_nc_u64 s[56:57], s[34:35], s[56:57]
	s_delay_alu instid0(SALU_CYCLE_1)
	s_add_co_u32 s52, s52, s56
	s_cselect_b32 s0, -1, 0
	s_wait_alu 0xfffe
	s_cmp_lg_u32 s0, 0
	s_add_co_ci_u32 s53, s53, s57
	s_wait_alu 0xfffe
	s_mul_u64 s[54:55], s[54:55], s[52:53]
	s_wait_alu 0xfffe
	s_mul_hi_u32 s57, s52, s55
	s_mul_i32 s56, s52, s55
	s_mul_hi_u32 s34, s52, s54
	s_mul_i32 s3, s53, s54
	s_wait_alu 0xfffe
	s_add_nc_u64 s[56:57], s[34:35], s[56:57]
	s_mul_hi_u32 s0, s53, s54
	s_mul_hi_u32 s58, s53, s55
	s_add_co_u32 s3, s56, s3
	s_wait_alu 0xfffe
	s_add_co_ci_u32 s34, s57, s0
	s_mul_i32 s54, s53, s55
	s_add_co_ci_u32 s55, s58, 0
	s_wait_alu 0xfffe
	s_add_nc_u64 s[54:55], s[34:35], s[54:55]
	s_wait_alu 0xfffe
	s_add_co_u32 s0, s52, s54
	s_cselect_b32 s3, -1, 0
	s_wait_alu 0xfffe
	v_mul_hi_u32 v16, v7, s0
	s_cmp_lg_u32 s3, 0
	v_mad_co_u64_u32 v[5:6], null, v15, s0, 0
	s_add_co_ci_u32 s3, s53, s55
	s_wait_alu 0xfffe
	v_mad_co_u64_u32 v[3:4], null, v7, s3, 0
	v_mad_co_u64_u32 v[12:13], null, v15, s3, 0
	s_delay_alu instid0(VALU_DEP_2) | instskip(SKIP_1) | instid1(VALU_DEP_3)
	v_add_co_u32 v3, vcc_lo, v16, v3
	s_wait_alu 0xfffd
	v_add_co_ci_u32_e64 v4, null, 0, v4, vcc_lo
	s_delay_alu instid0(VALU_DEP_2) | instskip(SKIP_1) | instid1(VALU_DEP_2)
	v_add_co_u32 v3, vcc_lo, v3, v5
	s_wait_alu 0xfffd
	v_add_co_ci_u32_e32 v3, vcc_lo, v4, v6, vcc_lo
	s_wait_alu 0xfffd
	v_add_co_ci_u32_e32 v4, vcc_lo, 0, v13, vcc_lo
	s_delay_alu instid0(VALU_DEP_2) | instskip(SKIP_1) | instid1(VALU_DEP_2)
	v_add_co_u32 v5, vcc_lo, v3, v12
	s_wait_alu 0xfffd
	v_add_co_ci_u32_e64 v6, null, 0, v4, vcc_lo
	s_delay_alu instid0(VALU_DEP_2) | instskip(SKIP_1) | instid1(VALU_DEP_3)
	v_mul_lo_u32 v12, s51, v5
	v_mad_co_u64_u32 v[3:4], null, s50, v5, 0
	v_mul_lo_u32 v13, s50, v6
	s_delay_alu instid0(VALU_DEP_2) | instskip(NEXT) | instid1(VALU_DEP_2)
	v_sub_co_u32 v3, vcc_lo, v7, v3
	v_add3_u32 v4, v4, v13, v12
	s_delay_alu instid0(VALU_DEP_1) | instskip(SKIP_2) | instid1(VALU_DEP_2)
	v_sub_nc_u32_e32 v12, v15, v4
	s_wait_alu 0xfffd
	v_sub_co_ci_u32_e64 v4, null, v15, v4, vcc_lo
	v_subrev_co_ci_u32_e64 v7, null, s51, v12, vcc_lo
	v_add_co_u32 v12, s0, v5, 2
	s_wait_alu 0xf1ff
	v_add_co_ci_u32_e64 v13, null, 0, v6, s0
	v_sub_co_u32 v16, s0, v3, s50
	s_wait_alu 0xf1ff
	v_subrev_co_ci_u32_e64 v7, null, 0, v7, s0
	s_delay_alu instid0(VALU_DEP_2) | instskip(SKIP_2) | instid1(VALU_DEP_3)
	v_cmp_le_u32_e32 vcc_lo, s50, v16
	s_wait_alu 0xfffd
	v_cndmask_b32_e64 v15, 0, -1, vcc_lo
	v_cmp_le_u32_e32 vcc_lo, s51, v7
	s_wait_alu 0xfffd
	v_cndmask_b32_e64 v16, 0, -1, vcc_lo
	;; [unrolled: 3-line block ×4, first 2 shown]
	v_cmp_eq_u32_e32 vcc_lo, s51, v7
	s_wait_alu 0xfffd
	v_cndmask_b32_e32 v7, v16, v15, vcc_lo
	v_add_co_u32 v15, vcc_lo, v5, 1
	s_wait_alu 0xfffd
	v_add_co_ci_u32_e64 v16, null, 0, v6, vcc_lo
	v_cmp_eq_u32_e32 vcc_lo, s51, v4
	s_wait_alu 0xfffd
	v_cndmask_b32_e32 v3, v17, v3, vcc_lo
	v_cmp_ne_u32_e32 vcc_lo, 0, v7
	v_xor_b32_e32 v7, s2, v14
	s_wait_alu 0xfffd
	v_cndmask_b32_e32 v4, v16, v13, vcc_lo
	v_cmp_ne_u32_e64 s0, 0, v3
	v_cndmask_b32_e32 v3, v15, v12, vcc_lo
	s_wait_alu 0xf1ff
	s_delay_alu instid0(VALU_DEP_2) | instskip(NEXT) | instid1(VALU_DEP_2)
	v_cndmask_b32_e64 v4, v6, v4, s0
	v_cndmask_b32_e64 v3, v5, v3, s0
                                        ; implicit-def: $vgpr6
	s_delay_alu instid0(VALU_DEP_2) | instskip(NEXT) | instid1(VALU_DEP_2)
	v_xor_b32_e32 v5, v4, v7
	v_xor_b32_e32 v3, v3, v7
	s_delay_alu instid0(VALU_DEP_1) | instskip(SKIP_1) | instid1(VALU_DEP_3)
	v_sub_co_u32 v4, vcc_lo, v3, v7
	s_wait_alu 0xfffd
	v_sub_co_ci_u32_e64 v5, null, v5, v7, vcc_lo
.LBB18_10:                              ;   in Loop: Header=BB18_3 Depth=1
	s_wait_alu 0xfffe
	s_and_not1_saveexec_b32 s0, s49
	s_cbranch_execz .LBB18_12
; %bb.11:                               ;   in Loop: Header=BB18_3 Depth=1
	s_sub_co_i32 s2, 0, s40
	s_wait_alu 0xfffe
	v_mul_lo_u32 v3, s2, v35
	s_delay_alu instid0(VALU_DEP_1) | instskip(NEXT) | instid1(VALU_DEP_1)
	v_mul_hi_u32 v3, v35, v3
	v_add_nc_u32_e32 v3, v35, v3
	s_delay_alu instid0(VALU_DEP_1) | instskip(NEXT) | instid1(VALU_DEP_1)
	v_mul_hi_u32 v3, v6, v3
	v_mul_lo_u32 v4, v3, s40
	v_add_nc_u32_e32 v5, 1, v3
	s_delay_alu instid0(VALU_DEP_2) | instskip(NEXT) | instid1(VALU_DEP_1)
	v_sub_nc_u32_e32 v4, v6, v4
	v_subrev_nc_u32_e32 v6, s40, v4
	v_cmp_le_u32_e32 vcc_lo, s40, v4
	s_wait_alu 0xfffd
	s_delay_alu instid0(VALU_DEP_2) | instskip(NEXT) | instid1(VALU_DEP_1)
	v_dual_cndmask_b32 v4, v4, v6 :: v_dual_cndmask_b32 v3, v3, v5
	v_cmp_le_u32_e32 vcc_lo, s40, v4
	s_delay_alu instid0(VALU_DEP_2) | instskip(SKIP_1) | instid1(VALU_DEP_1)
	v_add_nc_u32_e32 v5, 1, v3
	s_wait_alu 0xfffd
	v_dual_cndmask_b32 v4, v3, v5 :: v_dual_mov_b32 v5, v2
.LBB18_12:                              ;   in Loop: Header=BB18_3 Depth=1
	s_wait_alu 0xfffe
	s_or_b32 exec_lo, exec_lo, s0
	s_delay_alu instid0(VALU_DEP_1)
	v_add_co_u32 v4, vcc_lo, v4, 1
	s_wait_alu 0xfffd
	v_add_co_ci_u32_e64 v5, null, 0, v5, vcc_lo
.LBB18_13:                              ;   in Loop: Header=BB18_3 Depth=1
	s_wait_alu 0xfffe
	s_or_b32 exec_lo, exec_lo, s1
	v_or_b32_e32 v3, s41, v11
                                        ; implicit-def: $vgpr6_vgpr7
	s_mov_b32 s0, exec_lo
	s_delay_alu instid0(VALU_DEP_1)
	v_cmpx_ne_u64_e32 0, v[2:3]
	s_wait_alu 0xfffe
	s_xor_b32 s1, exec_lo, s0
	s_cbranch_execz .LBB18_15
; %bb.14:                               ;   in Loop: Header=BB18_3 Depth=1
	s_ashr_i32 s2, s41, 31
	v_ashrrev_i32_e32 v3, 31, v11
	s_wait_alu 0xfffe
	s_mov_b32 s3, s2
	s_wait_alu 0xfffe
	s_add_nc_u64 s[50:51], s[40:41], s[2:3]
	v_add_co_u32 v6, vcc_lo, v10, v3
	s_wait_alu 0xfffe
	s_xor_b64 s[50:51], s[50:51], s[2:3]
	s_wait_alu 0xfffd
	v_add_co_ci_u32_e64 v7, null, v11, v3, vcc_lo
	s_wait_alu 0xfffe
	s_cvt_f32_u32 s0, s50
	s_cvt_f32_u32 s3, s51
	s_sub_nc_u64 s[54:55], 0, s[50:51]
	v_xor_b32_e32 v14, v6, v3
	v_xor_b32_e32 v15, v7, v3
	s_wait_alu 0xfffe
	s_fmamk_f32 s0, s3, 0x4f800000, s0
	v_xor_b32_e32 v3, s2, v3
	s_wait_alu 0xfffe
	s_delay_alu instid0(SALU_CYCLE_1) | instskip(NEXT) | instid1(TRANS32_DEP_1)
	v_s_rcp_f32 s0, s0
	s_mul_f32 s0, s0, 0x5f7ffffc
	s_wait_alu 0xfffe
	s_delay_alu instid0(SALU_CYCLE_2) | instskip(SKIP_1) | instid1(SALU_CYCLE_2)
	s_mul_f32 s3, s0, 0x2f800000
	s_wait_alu 0xfffe
	s_trunc_f32 s3, s3
	s_wait_alu 0xfffe
	s_delay_alu instid0(SALU_CYCLE_2) | instskip(SKIP_2) | instid1(SALU_CYCLE_1)
	s_fmamk_f32 s0, s3, 0xcf800000, s0
	s_cvt_u32_f32 s53, s3
	s_wait_alu 0xfffe
	s_cvt_u32_f32 s52, s0
	s_wait_alu 0xfffe
	s_delay_alu instid0(SALU_CYCLE_2) | instskip(NEXT) | instid1(SALU_CYCLE_1)
	s_mul_u64 s[56:57], s[54:55], s[52:53]
	s_mul_hi_u32 s59, s52, s57
	s_mul_i32 s58, s52, s57
	s_mul_hi_u32 s34, s52, s56
	s_mul_i32 s3, s53, s56
	s_wait_alu 0xfffe
	s_add_nc_u64 s[58:59], s[34:35], s[58:59]
	s_mul_hi_u32 s0, s53, s56
	s_mul_hi_u32 s49, s53, s57
	s_wait_alu 0xfffe
	s_add_co_u32 s3, s58, s3
	s_add_co_ci_u32 s34, s59, s0
	s_mul_i32 s56, s53, s57
	s_add_co_ci_u32 s57, s49, 0
	s_wait_alu 0xfffe
	s_add_nc_u64 s[56:57], s[34:35], s[56:57]
	s_delay_alu instid0(SALU_CYCLE_1)
	s_add_co_u32 s52, s52, s56
	s_cselect_b32 s0, -1, 0
	s_wait_alu 0xfffe
	s_cmp_lg_u32 s0, 0
	s_add_co_ci_u32 s53, s53, s57
	s_wait_alu 0xfffe
	s_mul_u64 s[54:55], s[54:55], s[52:53]
	s_wait_alu 0xfffe
	s_mul_hi_u32 s57, s52, s55
	s_mul_i32 s56, s52, s55
	s_mul_hi_u32 s34, s52, s54
	s_mul_i32 s3, s53, s54
	s_wait_alu 0xfffe
	s_add_nc_u64 s[56:57], s[34:35], s[56:57]
	s_mul_hi_u32 s0, s53, s54
	s_mul_hi_u32 s49, s53, s55
	s_add_co_u32 s3, s56, s3
	s_wait_alu 0xfffe
	s_add_co_ci_u32 s34, s57, s0
	s_mul_i32 s54, s53, s55
	s_add_co_ci_u32 s55, s49, 0
	s_wait_alu 0xfffe
	s_add_nc_u64 s[54:55], s[34:35], s[54:55]
	s_wait_alu 0xfffe
	s_add_co_u32 s0, s52, s54
	s_cselect_b32 s3, -1, 0
	s_wait_alu 0xfffe
	v_mul_hi_u32 v16, v14, s0
	s_cmp_lg_u32 s3, 0
	v_mad_co_u64_u32 v[10:11], null, v15, s0, 0
	s_add_co_ci_u32 s3, s53, s55
	s_wait_alu 0xfffe
	v_mad_co_u64_u32 v[6:7], null, v14, s3, 0
	v_mad_co_u64_u32 v[12:13], null, v15, s3, 0
	s_delay_alu instid0(VALU_DEP_2) | instskip(SKIP_1) | instid1(VALU_DEP_3)
	v_add_co_u32 v6, vcc_lo, v16, v6
	s_wait_alu 0xfffd
	v_add_co_ci_u32_e64 v7, null, 0, v7, vcc_lo
	s_delay_alu instid0(VALU_DEP_2) | instskip(SKIP_1) | instid1(VALU_DEP_2)
	v_add_co_u32 v6, vcc_lo, v6, v10
	s_wait_alu 0xfffd
	v_add_co_ci_u32_e32 v6, vcc_lo, v7, v11, vcc_lo
	s_wait_alu 0xfffd
	v_add_co_ci_u32_e32 v7, vcc_lo, 0, v13, vcc_lo
	s_delay_alu instid0(VALU_DEP_2) | instskip(SKIP_1) | instid1(VALU_DEP_2)
	v_add_co_u32 v10, vcc_lo, v6, v12
	s_wait_alu 0xfffd
	v_add_co_ci_u32_e64 v11, null, 0, v7, vcc_lo
	s_delay_alu instid0(VALU_DEP_2) | instskip(SKIP_1) | instid1(VALU_DEP_3)
	v_mul_lo_u32 v12, s51, v10
	v_mad_co_u64_u32 v[6:7], null, s50, v10, 0
	v_mul_lo_u32 v13, s50, v11
	s_delay_alu instid0(VALU_DEP_2) | instskip(NEXT) | instid1(VALU_DEP_2)
	v_sub_co_u32 v6, vcc_lo, v14, v6
	v_add3_u32 v7, v7, v13, v12
	v_add_co_u32 v13, s0, v10, 2
	s_wait_alu 0xf1ff
	v_add_co_ci_u32_e64 v14, null, 0, v11, s0
	s_delay_alu instid0(VALU_DEP_3) | instskip(SKIP_3) | instid1(VALU_DEP_3)
	v_sub_nc_u32_e32 v12, v15, v7
	v_sub_co_u32 v16, s0, v6, s50
	s_wait_alu 0xfffd
	v_sub_co_ci_u32_e64 v7, null, v15, v7, vcc_lo
	v_subrev_co_ci_u32_e64 v12, null, s51, v12, vcc_lo
	s_delay_alu instid0(VALU_DEP_3) | instskip(SKIP_1) | instid1(VALU_DEP_2)
	v_cmp_le_u32_e32 vcc_lo, s50, v16
	s_wait_alu 0xf1ff
	v_subrev_co_ci_u32_e64 v12, null, 0, v12, s0
	s_wait_alu 0xfffd
	v_cndmask_b32_e64 v15, 0, -1, vcc_lo
	s_delay_alu instid0(VALU_DEP_2)
	v_cmp_le_u32_e32 vcc_lo, s51, v12
	s_wait_alu 0xfffd
	v_cndmask_b32_e64 v16, 0, -1, vcc_lo
	v_cmp_le_u32_e32 vcc_lo, s50, v6
	s_wait_alu 0xfffd
	v_cndmask_b32_e64 v6, 0, -1, vcc_lo
	v_cmp_le_u32_e32 vcc_lo, s51, v7
	s_wait_alu 0xfffd
	v_cndmask_b32_e64 v17, 0, -1, vcc_lo
	v_cmp_eq_u32_e32 vcc_lo, s51, v12
	s_wait_alu 0xfffd
	v_cndmask_b32_e32 v12, v16, v15, vcc_lo
	v_add_co_u32 v15, vcc_lo, v10, 1
	s_wait_alu 0xfffd
	v_add_co_ci_u32_e64 v16, null, 0, v11, vcc_lo
	v_cmp_eq_u32_e32 vcc_lo, s51, v7
	s_wait_alu 0xfffd
	v_cndmask_b32_e32 v6, v17, v6, vcc_lo
	v_cmp_ne_u32_e32 vcc_lo, 0, v12
	s_delay_alu instid0(VALU_DEP_2) | instskip(SKIP_3) | instid1(VALU_DEP_1)
	v_cmp_ne_u32_e64 s0, 0, v6
	s_wait_alu 0xfffd
	v_dual_cndmask_b32 v7, v16, v14 :: v_dual_cndmask_b32 v6, v15, v13
	s_wait_alu 0xf1ff
	v_cndmask_b32_e64 v7, v11, v7, s0
	s_delay_alu instid0(VALU_DEP_2) | instskip(NEXT) | instid1(VALU_DEP_2)
	v_cndmask_b32_e64 v6, v10, v6, s0
                                        ; implicit-def: $vgpr10
	v_xor_b32_e32 v7, v7, v3
	s_delay_alu instid0(VALU_DEP_2) | instskip(NEXT) | instid1(VALU_DEP_1)
	v_xor_b32_e32 v6, v6, v3
	v_sub_co_u32 v6, vcc_lo, v6, v3
	s_wait_alu 0xfffd
	s_delay_alu instid0(VALU_DEP_3)
	v_sub_co_ci_u32_e64 v7, null, v7, v3, vcc_lo
.LBB18_15:                              ;   in Loop: Header=BB18_3 Depth=1
	s_wait_alu 0xfffe
	s_and_not1_saveexec_b32 s0, s1
	s_cbranch_execz .LBB18_17
; %bb.16:                               ;   in Loop: Header=BB18_3 Depth=1
	s_sub_co_i32 s1, 0, s40
	s_wait_alu 0xfffe
	v_mul_lo_u32 v3, s1, v35
	s_delay_alu instid0(VALU_DEP_1) | instskip(NEXT) | instid1(VALU_DEP_1)
	v_mul_hi_u32 v3, v35, v3
	v_add_nc_u32_e32 v3, v35, v3
	s_delay_alu instid0(VALU_DEP_1) | instskip(NEXT) | instid1(VALU_DEP_1)
	v_mul_hi_u32 v3, v10, v3
	v_mul_lo_u32 v6, v3, s40
	v_add_nc_u32_e32 v7, 1, v3
	s_delay_alu instid0(VALU_DEP_2) | instskip(NEXT) | instid1(VALU_DEP_1)
	v_sub_nc_u32_e32 v6, v10, v6
	v_subrev_nc_u32_e32 v10, s40, v6
	v_cmp_le_u32_e32 vcc_lo, s40, v6
	s_wait_alu 0xfffd
	s_delay_alu instid0(VALU_DEP_2) | instskip(NEXT) | instid1(VALU_DEP_1)
	v_dual_cndmask_b32 v6, v6, v10 :: v_dual_cndmask_b32 v3, v3, v7
	v_cmp_le_u32_e32 vcc_lo, s40, v6
	s_delay_alu instid0(VALU_DEP_2) | instskip(SKIP_1) | instid1(VALU_DEP_1)
	v_add_nc_u32_e32 v7, 1, v3
	s_wait_alu 0xfffd
	v_dual_cndmask_b32 v6, v3, v7 :: v_dual_mov_b32 v7, v2
.LBB18_17:                              ;   in Loop: Header=BB18_3 Depth=1
	s_wait_alu 0xfffe
	s_or_b32 exec_lo, exec_lo, s0
	v_mul_lo_u32 v3, v9, s14
	v_mul_lo_u32 v10, v8, s15
	v_mad_co_u64_u32 v[8:9], null, v8, s14, 0
	s_mov_b32 s1, exec_lo
	v_add3_u32 v3, v9, v10, v3
	v_sub_co_u32 v8, vcc_lo, v0, v8
	s_wait_alu 0xfffd
	s_delay_alu instid0(VALU_DEP_2) | instskip(NEXT) | instid1(VALU_DEP_2)
	v_sub_co_ci_u32_e64 v3, null, v1, v3, vcc_lo
	v_add_co_u32 v10, vcc_lo, v8, s64
	v_mov_b32_e32 v8, 0
	s_wait_alu 0xfffd
	s_delay_alu instid0(VALU_DEP_3) | instskip(SKIP_1) | instid1(VALU_DEP_2)
	v_add_co_ci_u32_e64 v11, null, s63, v3, vcc_lo
	v_mov_b32_e32 v9, 0
	v_cmpx_le_i64_e64 s[24:25], v[10:11]
	s_cbranch_execz .LBB18_23
; %bb.18:                               ;   in Loop: Header=BB18_3 Depth=1
	v_sub_co_u32 v12, vcc_lo, v10, s24
	s_wait_alu 0xfffd
	v_subrev_co_ci_u32_e64 v13, null, s25, v11, vcc_lo
                                        ; implicit-def: $vgpr8_vgpr9
	s_mov_b32 s0, exec_lo
	v_or_b32_e32 v3, s21, v13
	s_delay_alu instid0(VALU_DEP_1)
	v_cmpx_ne_u64_e32 0, v[2:3]
	s_wait_alu 0xfffe
	s_xor_b32 s49, exec_lo, s0
	s_cbranch_execz .LBB18_20
; %bb.19:                               ;   in Loop: Header=BB18_3 Depth=1
	s_ashr_i32 s2, s21, 31
	v_ashrrev_i32_e32 v3, 31, v13
	s_wait_alu 0xfffe
	s_mov_b32 s3, s2
	s_wait_alu 0xfffe
	s_add_nc_u64 s[50:51], s[20:21], s[2:3]
	v_add_co_u32 v8, vcc_lo, v12, v3
	s_wait_alu 0xfffe
	s_xor_b64 s[50:51], s[50:51], s[2:3]
	s_wait_alu 0xfffd
	v_add_co_ci_u32_e64 v9, null, v13, v3, vcc_lo
	s_wait_alu 0xfffe
	s_cvt_f32_u32 s0, s50
	s_cvt_f32_u32 s3, s51
	s_sub_nc_u64 s[54:55], 0, s[50:51]
	v_xor_b32_e32 v16, v8, v3
	v_xor_b32_e32 v17, v9, v3
	s_wait_alu 0xfffe
	s_fmamk_f32 s0, s3, 0x4f800000, s0
	v_xor_b32_e32 v3, s2, v3
	s_wait_alu 0xfffe
	s_delay_alu instid0(SALU_CYCLE_1) | instskip(NEXT) | instid1(TRANS32_DEP_1)
	v_s_rcp_f32 s0, s0
	s_mul_f32 s0, s0, 0x5f7ffffc
	s_wait_alu 0xfffe
	s_delay_alu instid0(SALU_CYCLE_2) | instskip(SKIP_1) | instid1(SALU_CYCLE_2)
	s_mul_f32 s3, s0, 0x2f800000
	s_wait_alu 0xfffe
	s_trunc_f32 s3, s3
	s_wait_alu 0xfffe
	s_delay_alu instid0(SALU_CYCLE_2) | instskip(SKIP_2) | instid1(SALU_CYCLE_1)
	s_fmamk_f32 s0, s3, 0xcf800000, s0
	s_cvt_u32_f32 s53, s3
	s_wait_alu 0xfffe
	s_cvt_u32_f32 s52, s0
	s_wait_alu 0xfffe
	s_delay_alu instid0(SALU_CYCLE_2) | instskip(NEXT) | instid1(SALU_CYCLE_1)
	s_mul_u64 s[56:57], s[54:55], s[52:53]
	s_mul_hi_u32 s59, s52, s57
	s_mul_i32 s58, s52, s57
	s_mul_hi_u32 s34, s52, s56
	s_mul_i32 s3, s53, s56
	s_wait_alu 0xfffe
	s_add_nc_u64 s[58:59], s[34:35], s[58:59]
	s_mul_hi_u32 s0, s53, s56
	s_mul_hi_u32 s60, s53, s57
	s_wait_alu 0xfffe
	s_add_co_u32 s3, s58, s3
	s_add_co_ci_u32 s34, s59, s0
	s_mul_i32 s56, s53, s57
	s_add_co_ci_u32 s57, s60, 0
	s_wait_alu 0xfffe
	s_add_nc_u64 s[56:57], s[34:35], s[56:57]
	s_delay_alu instid0(SALU_CYCLE_1)
	s_add_co_u32 s52, s52, s56
	s_cselect_b32 s0, -1, 0
	s_wait_alu 0xfffe
	s_cmp_lg_u32 s0, 0
	s_add_co_ci_u32 s53, s53, s57
	s_wait_alu 0xfffe
	s_mul_u64 s[54:55], s[54:55], s[52:53]
	s_wait_alu 0xfffe
	s_mul_hi_u32 s57, s52, s55
	s_mul_i32 s56, s52, s55
	s_mul_hi_u32 s34, s52, s54
	s_mul_i32 s3, s53, s54
	s_wait_alu 0xfffe
	s_add_nc_u64 s[56:57], s[34:35], s[56:57]
	s_mul_hi_u32 s0, s53, s54
	s_mul_hi_u32 s58, s53, s55
	s_add_co_u32 s3, s56, s3
	s_wait_alu 0xfffe
	s_add_co_ci_u32 s34, s57, s0
	s_mul_i32 s54, s53, s55
	s_add_co_ci_u32 s55, s58, 0
	s_wait_alu 0xfffe
	s_add_nc_u64 s[54:55], s[34:35], s[54:55]
	s_wait_alu 0xfffe
	s_add_co_u32 s0, s52, s54
	s_cselect_b32 s3, -1, 0
	s_wait_alu 0xfffe
	v_mul_hi_u32 v18, v16, s0
	s_cmp_lg_u32 s3, 0
	v_mad_co_u64_u32 v[12:13], null, v17, s0, 0
	s_add_co_ci_u32 s3, s53, s55
	s_wait_alu 0xfffe
	v_mad_co_u64_u32 v[8:9], null, v16, s3, 0
	v_mad_co_u64_u32 v[14:15], null, v17, s3, 0
	s_delay_alu instid0(VALU_DEP_2) | instskip(SKIP_1) | instid1(VALU_DEP_3)
	v_add_co_u32 v8, vcc_lo, v18, v8
	s_wait_alu 0xfffd
	v_add_co_ci_u32_e64 v9, null, 0, v9, vcc_lo
	s_delay_alu instid0(VALU_DEP_2) | instskip(SKIP_1) | instid1(VALU_DEP_2)
	v_add_co_u32 v8, vcc_lo, v8, v12
	s_wait_alu 0xfffd
	v_add_co_ci_u32_e32 v8, vcc_lo, v9, v13, vcc_lo
	s_wait_alu 0xfffd
	v_add_co_ci_u32_e32 v9, vcc_lo, 0, v15, vcc_lo
	s_delay_alu instid0(VALU_DEP_2) | instskip(SKIP_1) | instid1(VALU_DEP_2)
	v_add_co_u32 v12, vcc_lo, v8, v14
	s_wait_alu 0xfffd
	v_add_co_ci_u32_e64 v13, null, 0, v9, vcc_lo
	s_delay_alu instid0(VALU_DEP_2) | instskip(SKIP_1) | instid1(VALU_DEP_3)
	v_mul_lo_u32 v14, s51, v12
	v_mad_co_u64_u32 v[8:9], null, s50, v12, 0
	v_mul_lo_u32 v15, s50, v13
	s_delay_alu instid0(VALU_DEP_2) | instskip(NEXT) | instid1(VALU_DEP_2)
	v_sub_co_u32 v8, vcc_lo, v16, v8
	v_add3_u32 v9, v9, v15, v14
	v_add_co_u32 v15, s0, v12, 2
	s_wait_alu 0xf1ff
	v_add_co_ci_u32_e64 v16, null, 0, v13, s0
	s_delay_alu instid0(VALU_DEP_3) | instskip(SKIP_3) | instid1(VALU_DEP_3)
	v_sub_nc_u32_e32 v14, v17, v9
	v_sub_co_u32 v18, s0, v8, s50
	s_wait_alu 0xfffd
	v_sub_co_ci_u32_e64 v9, null, v17, v9, vcc_lo
	v_subrev_co_ci_u32_e64 v14, null, s51, v14, vcc_lo
	s_delay_alu instid0(VALU_DEP_3) | instskip(SKIP_1) | instid1(VALU_DEP_2)
	v_cmp_le_u32_e32 vcc_lo, s50, v18
	s_wait_alu 0xf1ff
	v_subrev_co_ci_u32_e64 v14, null, 0, v14, s0
	s_wait_alu 0xfffd
	v_cndmask_b32_e64 v17, 0, -1, vcc_lo
	s_delay_alu instid0(VALU_DEP_2)
	v_cmp_le_u32_e32 vcc_lo, s51, v14
	s_wait_alu 0xfffd
	v_cndmask_b32_e64 v18, 0, -1, vcc_lo
	v_cmp_le_u32_e32 vcc_lo, s50, v8
	s_wait_alu 0xfffd
	v_cndmask_b32_e64 v8, 0, -1, vcc_lo
	;; [unrolled: 3-line block ×3, first 2 shown]
	v_cmp_eq_u32_e32 vcc_lo, s51, v14
	s_wait_alu 0xfffd
	v_cndmask_b32_e32 v14, v18, v17, vcc_lo
	v_add_co_u32 v17, vcc_lo, v12, 1
	s_wait_alu 0xfffd
	v_add_co_ci_u32_e64 v18, null, 0, v13, vcc_lo
	v_cmp_eq_u32_e32 vcc_lo, s51, v9
	s_wait_alu 0xfffd
	v_cndmask_b32_e32 v8, v19, v8, vcc_lo
	v_cmp_ne_u32_e32 vcc_lo, 0, v14
	s_delay_alu instid0(VALU_DEP_2) | instskip(SKIP_3) | instid1(VALU_DEP_1)
	v_cmp_ne_u32_e64 s0, 0, v8
	s_wait_alu 0xfffd
	v_dual_cndmask_b32 v9, v18, v16 :: v_dual_cndmask_b32 v8, v17, v15
	s_wait_alu 0xf1ff
	v_cndmask_b32_e64 v9, v13, v9, s0
	s_delay_alu instid0(VALU_DEP_2) | instskip(NEXT) | instid1(VALU_DEP_2)
	v_cndmask_b32_e64 v8, v12, v8, s0
                                        ; implicit-def: $vgpr12
	v_xor_b32_e32 v9, v9, v3
	s_delay_alu instid0(VALU_DEP_2) | instskip(NEXT) | instid1(VALU_DEP_1)
	v_xor_b32_e32 v8, v8, v3
	v_sub_co_u32 v8, vcc_lo, v8, v3
	s_wait_alu 0xfffd
	s_delay_alu instid0(VALU_DEP_3)
	v_sub_co_ci_u32_e64 v9, null, v9, v3, vcc_lo
.LBB18_20:                              ;   in Loop: Header=BB18_3 Depth=1
	s_wait_alu 0xfffe
	s_and_not1_saveexec_b32 s0, s49
	s_cbranch_execz .LBB18_22
; %bb.21:                               ;   in Loop: Header=BB18_3 Depth=1
	v_cvt_f32_u32_e32 v3, s20
	s_sub_co_i32 s2, 0, s20
	s_delay_alu instid0(VALU_DEP_1) | instskip(NEXT) | instid1(TRANS32_DEP_1)
	v_rcp_iflag_f32_e32 v3, v3
	v_mul_f32_e32 v3, 0x4f7ffffe, v3
	s_delay_alu instid0(VALU_DEP_1) | instskip(SKIP_1) | instid1(VALU_DEP_1)
	v_cvt_u32_f32_e32 v3, v3
	s_wait_alu 0xfffe
	v_mul_lo_u32 v8, s2, v3
	s_delay_alu instid0(VALU_DEP_1) | instskip(NEXT) | instid1(VALU_DEP_1)
	v_mul_hi_u32 v8, v3, v8
	v_add_nc_u32_e32 v3, v3, v8
	s_delay_alu instid0(VALU_DEP_1) | instskip(NEXT) | instid1(VALU_DEP_1)
	v_mul_hi_u32 v3, v12, v3
	v_mul_lo_u32 v8, v3, s20
	v_add_nc_u32_e32 v9, 1, v3
	s_delay_alu instid0(VALU_DEP_2) | instskip(NEXT) | instid1(VALU_DEP_1)
	v_sub_nc_u32_e32 v8, v12, v8
	v_subrev_nc_u32_e32 v12, s20, v8
	v_cmp_le_u32_e32 vcc_lo, s20, v8
	s_wait_alu 0xfffd
	s_delay_alu instid0(VALU_DEP_2) | instskip(NEXT) | instid1(VALU_DEP_1)
	v_dual_cndmask_b32 v8, v8, v12 :: v_dual_cndmask_b32 v3, v3, v9
	v_cmp_le_u32_e32 vcc_lo, s20, v8
	s_delay_alu instid0(VALU_DEP_2) | instskip(SKIP_1) | instid1(VALU_DEP_1)
	v_add_nc_u32_e32 v9, 1, v3
	s_wait_alu 0xfffd
	v_dual_cndmask_b32 v8, v3, v9 :: v_dual_mov_b32 v9, v2
.LBB18_22:                              ;   in Loop: Header=BB18_3 Depth=1
	s_wait_alu 0xfffe
	s_or_b32 exec_lo, exec_lo, s0
	s_delay_alu instid0(VALU_DEP_1)
	v_add_co_u32 v8, vcc_lo, v8, 1
	s_wait_alu 0xfffd
	v_add_co_ci_u32_e64 v9, null, 0, v9, vcc_lo
.LBB18_23:                              ;   in Loop: Header=BB18_3 Depth=1
	s_wait_alu 0xfffe
	s_or_b32 exec_lo, exec_lo, s1
	v_or_b32_e32 v3, s21, v11
                                        ; implicit-def: $vgpr12_vgpr13
	s_mov_b32 s0, exec_lo
	s_delay_alu instid0(VALU_DEP_1)
	v_cmpx_ne_u64_e32 0, v[2:3]
	s_wait_alu 0xfffe
	s_xor_b32 s1, exec_lo, s0
	s_cbranch_execnz .LBB18_26
; %bb.24:                               ;   in Loop: Header=BB18_3 Depth=1
	s_wait_alu 0xfffe
	s_and_not1_saveexec_b32 s0, s1
	s_cbranch_execnz .LBB18_27
.LBB18_25:                              ;   in Loop: Header=BB18_3 Depth=1
	s_wait_alu 0xfffe
	s_or_b32 exec_lo, exec_lo, s0
	s_delay_alu instid0(SALU_CYCLE_1)
	s_and_not1_b32 vcc_lo, exec_lo, s65
	s_wait_alu 0xfffe
	s_cbranch_vccnz .LBB18_2
	s_branch .LBB18_28
.LBB18_26:                              ;   in Loop: Header=BB18_3 Depth=1
	s_ashr_i32 s2, s21, 31
	v_ashrrev_i32_e32 v3, 31, v11
	s_wait_alu 0xfffe
	s_mov_b32 s3, s2
	s_wait_alu 0xfffe
	s_add_nc_u64 s[50:51], s[20:21], s[2:3]
	v_add_co_u32 v10, vcc_lo, v10, v3
	s_wait_alu 0xfffe
	s_xor_b64 s[50:51], s[50:51], s[2:3]
	s_wait_alu 0xfffd
	v_add_co_ci_u32_e64 v11, null, v11, v3, vcc_lo
	s_wait_alu 0xfffe
	s_cvt_f32_u32 s0, s50
	s_cvt_f32_u32 s3, s51
	s_sub_nc_u64 s[54:55], 0, s[50:51]
	v_xor_b32_e32 v16, v10, v3
	v_xor_b32_e32 v17, v11, v3
	s_wait_alu 0xfffe
	s_fmamk_f32 s0, s3, 0x4f800000, s0
	v_xor_b32_e32 v3, s2, v3
	s_wait_alu 0xfffe
	s_delay_alu instid0(SALU_CYCLE_1) | instskip(NEXT) | instid1(TRANS32_DEP_1)
	v_s_rcp_f32 s0, s0
	s_mul_f32 s0, s0, 0x5f7ffffc
	s_wait_alu 0xfffe
	s_delay_alu instid0(SALU_CYCLE_2) | instskip(SKIP_1) | instid1(SALU_CYCLE_2)
	s_mul_f32 s3, s0, 0x2f800000
	s_wait_alu 0xfffe
	s_trunc_f32 s3, s3
	s_wait_alu 0xfffe
	s_delay_alu instid0(SALU_CYCLE_2) | instskip(SKIP_2) | instid1(SALU_CYCLE_1)
	s_fmamk_f32 s0, s3, 0xcf800000, s0
	s_cvt_u32_f32 s53, s3
	s_wait_alu 0xfffe
	s_cvt_u32_f32 s52, s0
	s_wait_alu 0xfffe
	s_delay_alu instid0(SALU_CYCLE_2) | instskip(NEXT) | instid1(SALU_CYCLE_1)
	s_mul_u64 s[56:57], s[54:55], s[52:53]
	s_mul_hi_u32 s59, s52, s57
	s_mul_i32 s58, s52, s57
	s_mul_hi_u32 s34, s52, s56
	s_mul_i32 s3, s53, s56
	s_wait_alu 0xfffe
	s_add_nc_u64 s[58:59], s[34:35], s[58:59]
	s_mul_hi_u32 s0, s53, s56
	s_mul_hi_u32 s49, s53, s57
	s_wait_alu 0xfffe
	s_add_co_u32 s3, s58, s3
	s_add_co_ci_u32 s34, s59, s0
	s_mul_i32 s56, s53, s57
	s_add_co_ci_u32 s57, s49, 0
	s_wait_alu 0xfffe
	s_add_nc_u64 s[56:57], s[34:35], s[56:57]
	s_delay_alu instid0(SALU_CYCLE_1)
	s_add_co_u32 s52, s52, s56
	s_cselect_b32 s0, -1, 0
	s_wait_alu 0xfffe
	s_cmp_lg_u32 s0, 0
	s_add_co_ci_u32 s53, s53, s57
	s_wait_alu 0xfffe
	s_mul_u64 s[54:55], s[54:55], s[52:53]
	s_wait_alu 0xfffe
	s_mul_hi_u32 s57, s52, s55
	s_mul_i32 s56, s52, s55
	s_mul_hi_u32 s34, s52, s54
	s_mul_i32 s3, s53, s54
	s_wait_alu 0xfffe
	s_add_nc_u64 s[56:57], s[34:35], s[56:57]
	s_mul_hi_u32 s0, s53, s54
	s_mul_hi_u32 s49, s53, s55
	s_add_co_u32 s3, s56, s3
	s_wait_alu 0xfffe
	s_add_co_ci_u32 s34, s57, s0
	s_mul_i32 s54, s53, s55
	s_add_co_ci_u32 s55, s49, 0
	s_wait_alu 0xfffe
	s_add_nc_u64 s[54:55], s[34:35], s[54:55]
	s_wait_alu 0xfffe
	s_add_co_u32 s0, s52, s54
	s_cselect_b32 s3, -1, 0
	s_wait_alu 0xfffe
	v_mul_hi_u32 v18, v16, s0
	s_cmp_lg_u32 s3, 0
	v_mad_co_u64_u32 v[12:13], null, v17, s0, 0
	s_add_co_ci_u32 s3, s53, s55
	s_wait_alu 0xfffe
	v_mad_co_u64_u32 v[10:11], null, v16, s3, 0
	v_mad_co_u64_u32 v[14:15], null, v17, s3, 0
	s_delay_alu instid0(VALU_DEP_2) | instskip(SKIP_1) | instid1(VALU_DEP_3)
	v_add_co_u32 v10, vcc_lo, v18, v10
	s_wait_alu 0xfffd
	v_add_co_ci_u32_e64 v11, null, 0, v11, vcc_lo
	s_delay_alu instid0(VALU_DEP_2) | instskip(SKIP_1) | instid1(VALU_DEP_2)
	v_add_co_u32 v10, vcc_lo, v10, v12
	s_wait_alu 0xfffd
	v_add_co_ci_u32_e32 v10, vcc_lo, v11, v13, vcc_lo
	s_wait_alu 0xfffd
	v_add_co_ci_u32_e32 v11, vcc_lo, 0, v15, vcc_lo
	s_delay_alu instid0(VALU_DEP_2) | instskip(SKIP_1) | instid1(VALU_DEP_2)
	v_add_co_u32 v12, vcc_lo, v10, v14
	s_wait_alu 0xfffd
	v_add_co_ci_u32_e64 v13, null, 0, v11, vcc_lo
	s_delay_alu instid0(VALU_DEP_2) | instskip(SKIP_1) | instid1(VALU_DEP_3)
	v_mul_lo_u32 v14, s51, v12
	v_mad_co_u64_u32 v[10:11], null, s50, v12, 0
	v_mul_lo_u32 v15, s50, v13
	s_delay_alu instid0(VALU_DEP_2) | instskip(NEXT) | instid1(VALU_DEP_2)
	v_sub_co_u32 v10, vcc_lo, v16, v10
	v_add3_u32 v11, v11, v15, v14
	v_add_co_u32 v15, s0, v12, 2
	s_wait_alu 0xf1ff
	v_add_co_ci_u32_e64 v16, null, 0, v13, s0
	s_delay_alu instid0(VALU_DEP_3) | instskip(SKIP_3) | instid1(VALU_DEP_3)
	v_sub_nc_u32_e32 v14, v17, v11
	v_sub_co_u32 v18, s0, v10, s50
	s_wait_alu 0xfffd
	v_sub_co_ci_u32_e64 v11, null, v17, v11, vcc_lo
	v_subrev_co_ci_u32_e64 v14, null, s51, v14, vcc_lo
	s_delay_alu instid0(VALU_DEP_3) | instskip(SKIP_1) | instid1(VALU_DEP_2)
	v_cmp_le_u32_e32 vcc_lo, s50, v18
	s_wait_alu 0xf1ff
	v_subrev_co_ci_u32_e64 v14, null, 0, v14, s0
	s_wait_alu 0xfffd
	v_cndmask_b32_e64 v17, 0, -1, vcc_lo
	s_delay_alu instid0(VALU_DEP_2)
	v_cmp_le_u32_e32 vcc_lo, s51, v14
	s_wait_alu 0xfffd
	v_cndmask_b32_e64 v18, 0, -1, vcc_lo
	v_cmp_le_u32_e32 vcc_lo, s50, v10
	s_wait_alu 0xfffd
	v_cndmask_b32_e64 v10, 0, -1, vcc_lo
	;; [unrolled: 3-line block ×3, first 2 shown]
	v_cmp_eq_u32_e32 vcc_lo, s51, v14
	s_wait_alu 0xfffd
	v_cndmask_b32_e32 v14, v18, v17, vcc_lo
	v_add_co_u32 v17, vcc_lo, v12, 1
	s_wait_alu 0xfffd
	v_add_co_ci_u32_e64 v18, null, 0, v13, vcc_lo
	v_cmp_eq_u32_e32 vcc_lo, s51, v11
	s_wait_alu 0xfffd
	v_cndmask_b32_e32 v10, v19, v10, vcc_lo
	v_cmp_ne_u32_e32 vcc_lo, 0, v14
	s_wait_alu 0xfffd
	v_cndmask_b32_e32 v11, v18, v16, vcc_lo
	s_delay_alu instid0(VALU_DEP_3) | instskip(SKIP_2) | instid1(VALU_DEP_2)
	v_cmp_ne_u32_e64 s0, 0, v10
	v_cndmask_b32_e32 v10, v17, v15, vcc_lo
	s_wait_alu 0xf1ff
	v_cndmask_b32_e64 v11, v13, v11, s0
	s_delay_alu instid0(VALU_DEP_2) | instskip(NEXT) | instid1(VALU_DEP_2)
	v_cndmask_b32_e64 v10, v12, v10, s0
	v_xor_b32_e32 v11, v11, v3
	s_delay_alu instid0(VALU_DEP_2) | instskip(NEXT) | instid1(VALU_DEP_1)
	v_xor_b32_e32 v10, v10, v3
	v_sub_co_u32 v12, vcc_lo, v10, v3
	s_wait_alu 0xfffd
	s_delay_alu instid0(VALU_DEP_3)
	v_sub_co_ci_u32_e64 v13, null, v11, v3, vcc_lo
                                        ; implicit-def: $vgpr10
	s_and_not1_saveexec_b32 s0, s1
	s_cbranch_execz .LBB18_25
.LBB18_27:                              ;   in Loop: Header=BB18_3 Depth=1
	v_cvt_f32_u32_e32 v3, s20
	s_sub_co_i32 s1, 0, s20
	v_mov_b32_e32 v13, v2
	s_delay_alu instid0(VALU_DEP_2) | instskip(NEXT) | instid1(TRANS32_DEP_1)
	v_rcp_iflag_f32_e32 v3, v3
	v_mul_f32_e32 v3, 0x4f7ffffe, v3
	s_delay_alu instid0(VALU_DEP_1) | instskip(SKIP_1) | instid1(VALU_DEP_1)
	v_cvt_u32_f32_e32 v3, v3
	s_wait_alu 0xfffe
	v_mul_lo_u32 v11, s1, v3
	s_delay_alu instid0(VALU_DEP_1) | instskip(NEXT) | instid1(VALU_DEP_1)
	v_mul_hi_u32 v11, v3, v11
	v_add_nc_u32_e32 v3, v3, v11
	s_delay_alu instid0(VALU_DEP_1) | instskip(NEXT) | instid1(VALU_DEP_1)
	v_mul_hi_u32 v3, v10, v3
	v_mul_lo_u32 v11, v3, s20
	s_delay_alu instid0(VALU_DEP_1) | instskip(SKIP_1) | instid1(VALU_DEP_2)
	v_sub_nc_u32_e32 v10, v10, v11
	v_add_nc_u32_e32 v11, 1, v3
	v_subrev_nc_u32_e32 v12, s20, v10
	v_cmp_le_u32_e32 vcc_lo, s20, v10
	s_wait_alu 0xfffd
	s_delay_alu instid0(VALU_DEP_2) | instskip(NEXT) | instid1(VALU_DEP_1)
	v_dual_cndmask_b32 v10, v10, v12 :: v_dual_cndmask_b32 v3, v3, v11
	v_cmp_le_u32_e32 vcc_lo, s20, v10
	s_delay_alu instid0(VALU_DEP_2) | instskip(SKIP_1) | instid1(VALU_DEP_1)
	v_add_nc_u32_e32 v11, 1, v3
	s_wait_alu 0xfffd
	v_cndmask_b32_e32 v12, v3, v11, vcc_lo
	s_or_b32 exec_lo, exec_lo, s0
	s_delay_alu instid0(SALU_CYCLE_1)
	s_and_not1_b32 vcc_lo, exec_lo, s65
	s_wait_alu 0xfffe
	s_cbranch_vccnz .LBB18_2
.LBB18_28:                              ;   in Loop: Header=BB18_3 Depth=1
	v_add_co_u32 v10, vcc_lo, v12, 1
	s_wait_alu 0xfffd
	v_add_co_ci_u32_e64 v11, null, 0, v13, vcc_lo
	v_add_co_u32 v3, vcc_lo, s26, v4
	s_wait_alu 0xfffd
	v_add_co_ci_u32_e64 v14, null, s27, v5, vcc_lo
	v_add_co_u32 v12, vcc_lo, v6, 1
	s_delay_alu instid0(VALU_DEP_3) | instskip(NEXT) | instid1(VALU_DEP_3)
	v_mul_lo_u32 v17, s19, v3
	v_mul_lo_u32 v16, s18, v14
	v_mad_co_u64_u32 v[14:15], null, s18, v3, v[8:9]
	s_wait_alu 0xfffd
	v_add_co_ci_u32_e64 v13, null, 0, v7, vcc_lo
	s_load_b32 s50, s[28:29], 0x4
	v_cmp_gt_i64_e32 vcc_lo, s[18:19], v[10:11]
	s_mov_b32 s51, s35
	v_cmp_gt_i64_e64 s0, s[16:17], v[12:13]
	v_add3_u32 v15, v17, v15, v16
	v_lshlrev_b64_e32 v[16:17], 3, v[0:1]
	s_mov_b64 s[54:55], s[38:39]
	s_wait_alu 0xfffd
	v_cndmask_b32_e32 v7, s19, v11, vcc_lo
	v_cndmask_b32_e32 v6, s18, v10, vcc_lo
	v_lshlrev_b64_e32 v[14:15], 3, v[14:15]
	s_wait_alu 0xf1ff
	v_cndmask_b32_e64 v11, s17, v13, s0
	v_cndmask_b32_e64 v10, s16, v12, s0
	v_add_co_u32 v3, vcc_lo, s30, v16
	s_wait_alu 0xfffd
	v_add_co_ci_u32_e64 v36, null, s31, v17, vcc_lo
	v_add_co_u32 v12, vcc_lo, s6, v14
	s_wait_alu 0xfffd
	v_add_co_ci_u32_e64 v13, null, s7, v15, vcc_lo
	v_add_co_u32 v14, vcc_lo, s4, v14
	v_cmp_lt_i64_e64 s0, v[4:5], v[10:11]
	v_cmp_lt_i64_e64 s1, v[8:9], v[6:7]
	s_wait_alu 0xfffd
	v_add_co_ci_u32_e64 v15, null, s5, v15, vcc_lo
	s_wait_kmcnt 0x0
	s_wait_alu 0xfffe
	s_mul_u64 s[52:53], s[42:43], s[50:51]
	s_branch .LBB18_30
.LBB18_29:                              ;   in Loop: Header=BB18_30 Depth=2
	s_add_nc_u64 s[54:55], s[54:55], s[50:51]
	v_add_co_u32 v12, vcc_lo, v12, s52
	s_wait_alu 0xfffe
	v_cmp_ge_i64_e64 s2, s[54:55], s[8:9]
	s_wait_alu 0xfffd
	v_add_co_ci_u32_e64 v13, null, s53, v13, vcc_lo
	v_add_co_u32 v14, vcc_lo, v14, s52
	s_wait_alu 0xfffd
	v_add_co_ci_u32_e64 v15, null, s53, v15, vcc_lo
	s_and_b32 vcc_lo, exec_lo, s2
	s_wait_alu 0xfffe
	s_cbranch_vccnz .LBB18_2
.LBB18_30:                              ;   Parent Loop BB18_3 Depth=1
                                        ; =>  This Loop Header: Depth=2
                                        ;       Child Loop BB18_34 Depth 3
                                        ;         Child Loop BB18_38 Depth 4
                                        ;           Child Loop BB18_41 Depth 5
	s_and_not1_b32 vcc_lo, exec_lo, s66
	s_wait_alu 0xfffe
	s_cbranch_vccnz .LBB18_29
; %bb.31:                               ;   in Loop: Header=BB18_30 Depth=2
	s_load_b32 s34, s[28:29], 0x8
	v_dual_mov_b32 v17, v15 :: v_dual_mov_b32 v16, v14
	v_dual_mov_b32 v19, v13 :: v_dual_mov_b32 v18, v12
	s_mul_u64 s[56:57], s[54:55], s[10:11]
	s_mov_b64 s[60:61], s[36:37]
	s_wait_kmcnt 0x0
	s_mul_u64 s[58:59], s[44:45], s[34:35]
	s_branch .LBB18_34
.LBB18_32:                              ;   in Loop: Header=BB18_34 Depth=3
	s_or_b32 exec_lo, exec_lo, s49
.LBB18_33:                              ;   in Loop: Header=BB18_34 Depth=3
	s_wait_alu 0xfffe
	s_or_b32 exec_lo, exec_lo, s3
	s_add_nc_u64 s[2:3], s[60:61], s[56:57]
	s_add_nc_u64 s[60:61], s[60:61], s[34:35]
	s_wait_alu 0xfffe
	s_mul_u64 s[2:3], s[12:13], s[2:3]
	s_wait_alu 0xfffe
	s_lshl_b64 s[2:3], s[2:3], 3
	s_wait_alu 0xfffe
	v_add_co_u32 v22, vcc_lo, v3, s2
	s_wait_alu 0xfffd
	v_add_co_ci_u32_e64 v23, null, s3, v36, vcc_lo
	v_add_co_u32 v18, vcc_lo, v18, s58
	v_cmp_ge_i64_e64 s2, s[60:61], s[10:11]
	s_wait_alu 0xfffd
	v_add_co_ci_u32_e64 v19, null, s59, v19, vcc_lo
	v_add_co_u32 v16, vcc_lo, v16, s58
	s_wait_alu 0xfffd
	v_add_co_ci_u32_e64 v17, null, s59, v17, vcc_lo
	s_and_b32 vcc_lo, exec_lo, s2
	global_store_b64 v[22:23], v[20:21], off
	s_wait_alu 0xfffe
	s_cbranch_vccnz .LBB18_29
.LBB18_34:                              ;   Parent Loop BB18_3 Depth=1
                                        ;     Parent Loop BB18_30 Depth=2
                                        ; =>    This Loop Header: Depth=3
                                        ;         Child Loop BB18_38 Depth 4
                                        ;           Child Loop BB18_41 Depth 5
	v_mov_b32_e32 v20, 0
	v_mov_b32_e32 v21, 0
	s_and_saveexec_b32 s3, s0
	s_cbranch_execz .LBB18_33
; %bb.35:                               ;   in Loop: Header=BB18_34 Depth=3
	v_dual_mov_b32 v20, 0 :: v_dual_mov_b32 v23, v17
	v_dual_mov_b32 v21, 0 :: v_dual_mov_b32 v22, v16
	;; [unrolled: 1-line block ×4, first 2 shown]
	s_mov_b32 s49, 0
	s_branch .LBB18_38
.LBB18_36:                              ;   in Loop: Header=BB18_38 Depth=4
	s_or_b32 exec_lo, exec_lo, s70
.LBB18_37:                              ;   in Loop: Header=BB18_38 Depth=4
	s_delay_alu instid0(SALU_CYCLE_1)
	s_or_b32 exec_lo, exec_lo, s69
	v_add_co_u32 v26, vcc_lo, v26, 1
	s_wait_alu 0xfffd
	v_add_co_ci_u32_e64 v27, null, 0, v27, vcc_lo
	v_add_co_u32 v24, vcc_lo, v24, s46
	s_wait_alu 0xfffd
	v_add_co_ci_u32_e64 v25, null, s47, v25, vcc_lo
	s_delay_alu instid0(VALU_DEP_3)
	v_cmp_ge_i64_e32 vcc_lo, v[26:27], v[10:11]
	v_add_co_u32 v22, s2, v22, s46
	s_wait_alu 0xf1ff
	v_add_co_ci_u32_e64 v23, null, s47, v23, s2
	s_wait_alu 0xfffe
	s_or_b32 s49, vcc_lo, s49
	s_wait_alu 0xfffe
	s_and_not1_b32 exec_lo, exec_lo, s49
	s_cbranch_execz .LBB18_32
.LBB18_38:                              ;   Parent Loop BB18_3 Depth=1
                                        ;     Parent Loop BB18_30 Depth=2
                                        ;       Parent Loop BB18_34 Depth=3
                                        ; =>      This Loop Header: Depth=4
                                        ;           Child Loop BB18_41 Depth 5
	s_and_saveexec_b32 s69, s1
	s_cbranch_execz .LBB18_37
; %bb.39:                               ;   in Loop: Header=BB18_38 Depth=4
	v_dual_mov_b32 v29, v23 :: v_dual_mov_b32 v28, v22
	v_dual_mov_b32 v31, v25 :: v_dual_mov_b32 v30, v24
	;; [unrolled: 1-line block ×3, first 2 shown]
	s_mov_b32 s70, 0
	s_branch .LBB18_41
.LBB18_40:                              ;   in Loop: Header=BB18_41 Depth=5
	s_wait_alu 0xfffe
	s_or_b32 exec_lo, exec_lo, s2
	v_add_co_u32 v32, vcc_lo, v32, 1
	s_wait_alu 0xfffd
	v_add_co_ci_u32_e64 v33, null, 0, v33, vcc_lo
	v_add_co_u32 v30, vcc_lo, v30, 8
	s_wait_alu 0xfffd
	v_add_co_ci_u32_e64 v31, null, 0, v31, vcc_lo
	s_delay_alu instid0(VALU_DEP_3) | instskip(SKIP_4) | instid1(SALU_CYCLE_1)
	v_cmp_ge_i64_e32 vcc_lo, v[32:33], v[6:7]
	v_add_co_u32 v28, s2, v28, 8
	s_wait_alu 0xf1ff
	v_add_co_ci_u32_e64 v29, null, 0, v29, s2
	s_or_b32 s70, vcc_lo, s70
	s_and_not1_b32 exec_lo, exec_lo, s70
	s_cbranch_execz .LBB18_36
.LBB18_41:                              ;   Parent Loop BB18_3 Depth=1
                                        ;     Parent Loop BB18_30 Depth=2
                                        ;       Parent Loop BB18_34 Depth=3
                                        ;         Parent Loop BB18_38 Depth=4
                                        ; =>        This Inner Loop Header: Depth=5
	global_load_b64 v[37:38], v[30:31], off
	s_mov_b32 s2, exec_lo
	s_wait_loadcnt 0x0
	v_cmpx_eq_u64_e64 v[37:38], v[0:1]
	s_cbranch_execz .LBB18_40
; %bb.42:                               ;   in Loop: Header=BB18_41 Depth=5
	global_load_b64 v[37:38], v[28:29], off
	s_wait_loadcnt 0x0
	v_add_f64_e32 v[20:21], v[20:21], v[37:38]
	s_branch .LBB18_40
.LBB18_43:
	s_endpgm
	.section	.rodata,"a",@progbits
	.p2align	6, 0x0
	.amdhsa_kernel _ZN2at6native12_GLOBAL__N_122max_pool_backward_nchwIddlEEvPKT_PKlT1_S8_S8_S8_S8_S8_iiiiiiiiPS3_
		.amdhsa_group_segment_fixed_size 0
		.amdhsa_private_segment_fixed_size 0
		.amdhsa_kernarg_size 360
		.amdhsa_user_sgpr_count 2
		.amdhsa_user_sgpr_dispatch_ptr 0
		.amdhsa_user_sgpr_queue_ptr 0
		.amdhsa_user_sgpr_kernarg_segment_ptr 1
		.amdhsa_user_sgpr_dispatch_id 0
		.amdhsa_user_sgpr_private_segment_size 0
		.amdhsa_wavefront_size32 1
		.amdhsa_uses_dynamic_stack 0
		.amdhsa_enable_private_segment 0
		.amdhsa_system_sgpr_workgroup_id_x 1
		.amdhsa_system_sgpr_workgroup_id_y 1
		.amdhsa_system_sgpr_workgroup_id_z 1
		.amdhsa_system_sgpr_workgroup_info 0
		.amdhsa_system_vgpr_workitem_id 0
		.amdhsa_next_free_vgpr 39
		.amdhsa_next_free_sgpr 71
		.amdhsa_reserve_vcc 1
		.amdhsa_float_round_mode_32 0
		.amdhsa_float_round_mode_16_64 0
		.amdhsa_float_denorm_mode_32 3
		.amdhsa_float_denorm_mode_16_64 3
		.amdhsa_fp16_overflow 0
		.amdhsa_workgroup_processor_mode 1
		.amdhsa_memory_ordered 1
		.amdhsa_forward_progress 1
		.amdhsa_inst_pref_size 50
		.amdhsa_round_robin_scheduling 0
		.amdhsa_exception_fp_ieee_invalid_op 0
		.amdhsa_exception_fp_denorm_src 0
		.amdhsa_exception_fp_ieee_div_zero 0
		.amdhsa_exception_fp_ieee_overflow 0
		.amdhsa_exception_fp_ieee_underflow 0
		.amdhsa_exception_fp_ieee_inexact 0
		.amdhsa_exception_int_div_zero 0
	.end_amdhsa_kernel
	.section	.text._ZN2at6native12_GLOBAL__N_122max_pool_backward_nchwIddlEEvPKT_PKlT1_S8_S8_S8_S8_S8_iiiiiiiiPS3_,"axG",@progbits,_ZN2at6native12_GLOBAL__N_122max_pool_backward_nchwIddlEEvPKT_PKlT1_S8_S8_S8_S8_S8_iiiiiiiiPS3_,comdat
.Lfunc_end18:
	.size	_ZN2at6native12_GLOBAL__N_122max_pool_backward_nchwIddlEEvPKT_PKlT1_S8_S8_S8_S8_S8_iiiiiiiiPS3_, .Lfunc_end18-_ZN2at6native12_GLOBAL__N_122max_pool_backward_nchwIddlEEvPKT_PKlT1_S8_S8_S8_S8_S8_iiiiiiiiPS3_
                                        ; -- End function
	.set _ZN2at6native12_GLOBAL__N_122max_pool_backward_nchwIddlEEvPKT_PKlT1_S8_S8_S8_S8_S8_iiiiiiiiPS3_.num_vgpr, 39
	.set _ZN2at6native12_GLOBAL__N_122max_pool_backward_nchwIddlEEvPKT_PKlT1_S8_S8_S8_S8_S8_iiiiiiiiPS3_.num_agpr, 0
	.set _ZN2at6native12_GLOBAL__N_122max_pool_backward_nchwIddlEEvPKT_PKlT1_S8_S8_S8_S8_S8_iiiiiiiiPS3_.numbered_sgpr, 71
	.set _ZN2at6native12_GLOBAL__N_122max_pool_backward_nchwIddlEEvPKT_PKlT1_S8_S8_S8_S8_S8_iiiiiiiiPS3_.num_named_barrier, 0
	.set _ZN2at6native12_GLOBAL__N_122max_pool_backward_nchwIddlEEvPKT_PKlT1_S8_S8_S8_S8_S8_iiiiiiiiPS3_.private_seg_size, 0
	.set _ZN2at6native12_GLOBAL__N_122max_pool_backward_nchwIddlEEvPKT_PKlT1_S8_S8_S8_S8_S8_iiiiiiiiPS3_.uses_vcc, 1
	.set _ZN2at6native12_GLOBAL__N_122max_pool_backward_nchwIddlEEvPKT_PKlT1_S8_S8_S8_S8_S8_iiiiiiiiPS3_.uses_flat_scratch, 0
	.set _ZN2at6native12_GLOBAL__N_122max_pool_backward_nchwIddlEEvPKT_PKlT1_S8_S8_S8_S8_S8_iiiiiiiiPS3_.has_dyn_sized_stack, 0
	.set _ZN2at6native12_GLOBAL__N_122max_pool_backward_nchwIddlEEvPKT_PKlT1_S8_S8_S8_S8_S8_iiiiiiiiPS3_.has_recursion, 0
	.set _ZN2at6native12_GLOBAL__N_122max_pool_backward_nchwIddlEEvPKT_PKlT1_S8_S8_S8_S8_S8_iiiiiiiiPS3_.has_indirect_call, 0
	.section	.AMDGPU.csdata,"",@progbits
; Kernel info:
; codeLenInByte = 6324
; TotalNumSgprs: 73
; NumVgprs: 39
; ScratchSize: 0
; MemoryBound: 1
; FloatMode: 240
; IeeeMode: 1
; LDSByteSize: 0 bytes/workgroup (compile time only)
; SGPRBlocks: 0
; VGPRBlocks: 4
; NumSGPRsForWavesPerEU: 73
; NumVGPRsForWavesPerEU: 39
; Occupancy: 16
; WaveLimiterHint : 0
; COMPUTE_PGM_RSRC2:SCRATCH_EN: 0
; COMPUTE_PGM_RSRC2:USER_SGPR: 2
; COMPUTE_PGM_RSRC2:TRAP_HANDLER: 0
; COMPUTE_PGM_RSRC2:TGID_X_EN: 1
; COMPUTE_PGM_RSRC2:TGID_Y_EN: 1
; COMPUTE_PGM_RSRC2:TGID_Z_EN: 1
; COMPUTE_PGM_RSRC2:TIDIG_COMP_CNT: 0
	.section	.text._ZN2at6native12_GLOBAL__N_122max_pool_backward_nhwcIffEEvPKT_PKlillliiiiiiiiiiiiiiiPS3_,"axG",@progbits,_ZN2at6native12_GLOBAL__N_122max_pool_backward_nhwcIffEEvPKT_PKlillliiiiiiiiiiiiiiiPS3_,comdat
	.globl	_ZN2at6native12_GLOBAL__N_122max_pool_backward_nhwcIffEEvPKT_PKlillliiiiiiiiiiiiiiiPS3_ ; -- Begin function _ZN2at6native12_GLOBAL__N_122max_pool_backward_nhwcIffEEvPKT_PKlillliiiiiiiiiiiiiiiPS3_
	.p2align	8
	.type	_ZN2at6native12_GLOBAL__N_122max_pool_backward_nhwcIffEEvPKT_PKlillliiiiiiiiiiiiiiiPS3_,@function
_ZN2at6native12_GLOBAL__N_122max_pool_backward_nhwcIffEEvPKT_PKlillliiiiiiiiiiiiiiiPS3_: ; @_ZN2at6native12_GLOBAL__N_122max_pool_backward_nhwcIffEEvPKT_PKlillliiiiiiiiiiiiiiiPS3_
; %bb.0:
	s_clause 0x3
	s_load_b32 s37, s[0:1], 0x10
	s_load_b128 s[24:27], s[0:1], 0x7c
	s_load_b256 s[4:11], s[0:1], 0x50
	s_load_b256 s[12:19], s[0:1], 0x30
	v_bfe_u32 v2, v0, 10, 10
	v_bfe_u32 v1, v0, 20, 10
	v_and_b32_e32 v4, 0x3ff, v0
	s_mov_b32 s2, ttmp9
	s_mov_b32 s23, exec_lo
	s_wait_kmcnt 0x0
	s_cvt_f32_u32 s3, s37
	s_lshr_b32 s11, s26, 16
	s_and_b32 s36, s26, 0xffff
	v_mad_u32_u24 v7, v1, s11, v2
	v_rcp_iflag_f32_e32 v3, s3
	s_mul_i32 s20, s10, s36
	s_and_b32 s33, s27, 0xffff
	s_mul_i32 s22, s20, s11
	v_mad_co_u64_u32 v[5:6], null, v7, s36, v[4:5]
	s_mul_i32 s22, s22, s33
	s_delay_alu instid0(TRANS32_DEP_1) | instskip(SKIP_2) | instid1(SALU_CYCLE_2)
	v_readfirstlane_b32 s3, v3
	s_mul_f32 s3, s3, 0x4f7ffffe
	s_wait_alu 0xfffe
	s_cvt_u32_f32 s21, s3
	s_sub_co_i32 s3, 0, s37
	s_wait_alu 0xfffe
	s_delay_alu instid0(SALU_CYCLE_1)
	s_mul_i32 s3, s3, s21
	s_wait_alu 0xfffe
	s_mul_hi_u32 s20, s21, s3
	s_mov_b32 s3, 0
	s_add_co_i32 s20, s21, s20
	s_wait_alu 0xfffe
	s_mov_b32 s21, s3
	v_cmpx_gt_u32_e64 s22, v5
	s_cbranch_execz .LBB19_3
; %bb.1:
	s_mul_i32 s26, s11, s36
	v_lshl_add_u32 v0, v5, 2, 0
	v_mov_b32_e32 v3, 0
	s_mul_i32 s26, s26, s33
	s_mov_b32 s28, s3
	s_lshl_b32 s27, s26, 2
.LBB19_2:                               ; =>This Inner Loop Header: Depth=1
	v_add_nc_u32_e32 v5, s26, v5
	ds_store_b32 v0, v3
	v_add_nc_u32_e32 v0, s27, v0
	v_cmp_le_u32_e32 vcc_lo, s22, v5
	s_or_b32 s28, vcc_lo, s28
	s_delay_alu instid0(SALU_CYCLE_1)
	s_and_not1_b32 exec_lo, exec_lo, s28
	s_cbranch_execnz .LBB19_2
.LBB19_3:
	s_or_b32 exec_lo, exec_lo, s23
	s_mul_u64 s[2:3], s[2:3], s[20:21]
	s_clause 0x1
	s_load_b128 s[20:23], s[0:1], 0x18
	s_load_b64 s[28:29], s[0:1], 0x28
	s_mov_b32 s31, 0
	s_mov_b32 s30, s25
	s_wait_dscnt 0x0
	s_barrier_signal -1
	s_barrier_wait -1
	global_inv scope:SCOPE_SE
	s_wait_kmcnt 0x0
	s_add_nc_u64 s[26:27], s[22:23], s[30:31]
	s_wait_alu 0xfffe
	s_add_nc_u64 s[34:35], s[26:27], -1
	s_mov_b32 s26, s31
	s_mov_b32 s27, s35
	s_wait_alu 0xfffe
	s_cmp_lg_u64 s[26:27], 0
	s_cbranch_scc0 .LBB19_60
; %bb.4:
	s_add_nc_u64 s[26:27], s[30:31], 0
	s_mov_b32 s43, s31
	s_wait_alu 0xfffe
	s_xor_b64 s[26:27], s[26:27], 0
	s_mov_b32 s47, s31
	s_wait_alu 0xfffe
	s_cvt_f32_u32 s2, s26
	s_cvt_f32_u32 s25, s27
	s_sub_nc_u64 s[40:41], 0, s[26:27]
	s_wait_alu 0xfffe
	s_delay_alu instid0(SALU_CYCLE_1) | instskip(SKIP_1) | instid1(SALU_CYCLE_2)
	s_fmamk_f32 s2, s25, 0x4f800000, s2
	s_wait_alu 0xfffe
	v_s_rcp_f32 s2, s2
	s_delay_alu instid0(TRANS32_DEP_1) | instskip(SKIP_1) | instid1(SALU_CYCLE_2)
	s_mul_f32 s2, s2, 0x5f7ffffc
	s_wait_alu 0xfffe
	s_mul_f32 s25, s2, 0x2f800000
	s_delay_alu instid0(SALU_CYCLE_3) | instskip(NEXT) | instid1(SALU_CYCLE_3)
	s_trunc_f32 s25, s25
	s_fmamk_f32 s2, s25, 0xcf800000, s2
	s_cvt_u32_f32 s39, s25
	s_wait_alu 0xfffe
	s_delay_alu instid0(SALU_CYCLE_1) | instskip(NEXT) | instid1(SALU_CYCLE_3)
	s_cvt_u32_f32 s38, s2
	s_mul_u64 s[44:45], s[40:41], s[38:39]
	s_delay_alu instid0(SALU_CYCLE_1)
	s_mul_hi_u32 s49, s38, s45
	s_mul_i32 s48, s38, s45
	s_mul_hi_u32 s42, s38, s44
	s_mul_i32 s25, s39, s44
	s_add_nc_u64 s[42:43], s[42:43], s[48:49]
	s_mul_hi_u32 s2, s39, s44
	s_mul_hi_u32 s50, s39, s45
	s_add_co_u32 s25, s42, s25
	s_wait_alu 0xfffe
	s_add_co_ci_u32 s46, s43, s2
	s_mul_i32 s44, s39, s45
	s_add_co_ci_u32 s45, s50, 0
	s_delay_alu instid0(SALU_CYCLE_1)
	s_add_nc_u64 s[42:43], s[46:47], s[44:45]
	s_mov_b32 s45, s31
	s_add_co_u32 s38, s38, s42
	s_cselect_b32 s2, -1, 0
	s_wait_alu 0xfffe
	s_cmp_lg_u32 s2, 0
	s_add_co_ci_u32 s39, s39, s43
	s_mov_b32 s43, s31
	s_mul_u64 s[40:41], s[40:41], s[38:39]
	s_delay_alu instid0(SALU_CYCLE_1)
	s_mul_hi_u32 s47, s38, s41
	s_mul_i32 s46, s38, s41
	s_mul_hi_u32 s42, s38, s40
	s_mul_i32 s25, s39, s40
	s_add_nc_u64 s[42:43], s[42:43], s[46:47]
	s_mul_hi_u32 s2, s39, s40
	s_mul_hi_u32 s48, s39, s41
	s_add_co_u32 s25, s42, s25
	s_wait_alu 0xfffe
	s_add_co_ci_u32 s44, s43, s2
	s_mul_i32 s40, s39, s41
	s_add_co_ci_u32 s41, s48, 0
	s_mov_b32 s43, s31
	s_add_nc_u64 s[40:41], s[44:45], s[40:41]
	s_delay_alu instid0(SALU_CYCLE_1) | instskip(SKIP_1) | instid1(SALU_CYCLE_1)
	s_add_co_u32 s2, s38, s40
	s_cselect_b32 s25, -1, 0
	s_cmp_lg_u32 s25, 0
	s_add_co_ci_u32 s25, s39, s41
	s_ashr_i32 s38, s35, 31
	s_delay_alu instid0(SALU_CYCLE_1) | instskip(NEXT) | instid1(SALU_CYCLE_1)
	s_mov_b32 s39, s38
	s_add_nc_u64 s[40:41], s[34:35], s[38:39]
	s_delay_alu instid0(SALU_CYCLE_1) | instskip(NEXT) | instid1(SALU_CYCLE_1)
	s_xor_b64 s[40:41], s[40:41], s[38:39]
	s_mul_hi_u32 s47, s40, s25
	s_mul_i32 s46, s40, s25
	s_wait_alu 0xfffe
	s_mul_hi_u32 s42, s40, s2
	s_mul_hi_u32 s44, s41, s2
	s_mul_i32 s2, s41, s2
	s_add_nc_u64 s[42:43], s[42:43], s[46:47]
	s_mul_hi_u32 s35, s41, s25
	s_wait_alu 0xfffe
	s_add_co_u32 s2, s42, s2
	s_add_co_ci_u32 s44, s43, s44
	s_mul_i32 s46, s41, s25
	s_add_co_ci_u32 s47, s35, 0
	s_delay_alu instid0(SALU_CYCLE_1) | instskip(NEXT) | instid1(SALU_CYCLE_1)
	s_add_nc_u64 s[42:43], s[44:45], s[46:47]
	s_mul_u64 s[44:45], s[26:27], s[42:43]
	s_add_nc_u64 s[46:47], s[42:43], 1
	s_sub_co_u32 s2, s40, s44
	s_cselect_b32 s25, -1, 0
	s_sub_co_i32 s35, s41, s45
	s_cmp_lg_u32 s25, 0
	s_add_nc_u64 s[48:49], s[42:43], 2
	s_sub_co_ci_u32 s35, s35, s27
	s_wait_alu 0xfffe
	s_sub_co_u32 s40, s2, s26
	s_cselect_b32 s44, -1, 0
	s_delay_alu instid0(SALU_CYCLE_1) | instskip(SKIP_1) | instid1(SALU_CYCLE_1)
	s_cmp_lg_u32 s44, 0
	s_sub_co_ci_u32 s35, s35, 0
	s_cmp_ge_u32 s35, s27
	s_cselect_b32 s44, -1, 0
	s_cmp_ge_u32 s40, s26
	s_cselect_b32 s40, -1, 0
	s_cmp_eq_u32 s35, s27
	s_cselect_b32 s35, s40, s44
	s_delay_alu instid0(SALU_CYCLE_1) | instskip(SKIP_4) | instid1(SALU_CYCLE_1)
	s_cmp_lg_u32 s35, 0
	s_cselect_b32 s35, s48, s46
	s_cselect_b32 s40, s49, s47
	s_cmp_lg_u32 s25, 0
	s_sub_co_ci_u32 s25, s41, s45
	s_cmp_ge_u32 s25, s27
	s_cselect_b32 s41, -1, 0
	s_cmp_ge_u32 s2, s26
	s_cselect_b32 s2, -1, 0
	s_cmp_eq_u32 s25, s27
	s_wait_alu 0xfffe
	s_cselect_b32 s2, s2, s41
	s_wait_alu 0xfffe
	s_cmp_lg_u32 s2, 0
	s_cselect_b32 s27, s40, s43
	s_cselect_b32 s26, s35, s42
	s_xor_b64 s[38:39], s[38:39], 0
	s_wait_alu 0xfffe
	s_xor_b64 s[26:27], s[26:27], s[38:39]
	s_wait_alu 0xfffe
	s_sub_nc_u64 s[26:27], s[26:27], s[38:39]
	s_and_not1_b32 vcc_lo, exec_lo, s31
	s_cbranch_vccnz .LBB19_6
.LBB19_5:
	v_cvt_f32_u32_e32 v0, s30
	s_sub_co_i32 s25, 0, s30
	s_delay_alu instid0(VALU_DEP_1) | instskip(NEXT) | instid1(TRANS32_DEP_1)
	v_rcp_iflag_f32_e32 v0, v0
	v_mul_f32_e32 v0, 0x4f7ffffe, v0
	s_delay_alu instid0(VALU_DEP_1) | instskip(NEXT) | instid1(VALU_DEP_1)
	v_cvt_u32_f32_e32 v0, v0
	v_readfirstlane_b32 s2, v0
	s_mul_i32 s25, s25, s2
	s_delay_alu instid0(SALU_CYCLE_1) | instskip(NEXT) | instid1(SALU_CYCLE_1)
	s_mul_hi_u32 s25, s2, s25
	s_add_co_i32 s2, s2, s25
	s_wait_alu 0xfffe
	s_mul_hi_u32 s2, s34, s2
	s_wait_alu 0xfffe
	s_mul_i32 s25, s2, s30
	s_add_co_i32 s26, s2, 1
	s_sub_co_i32 s25, s34, s25
	s_delay_alu instid0(SALU_CYCLE_1)
	s_sub_co_i32 s27, s25, s30
	s_cmp_ge_u32 s25, s30
	s_wait_alu 0xfffe
	s_cselect_b32 s2, s26, s2
	s_cselect_b32 s25, s27, s25
	s_wait_alu 0xfffe
	s_add_co_i32 s26, s2, 1
	s_cmp_ge_u32 s25, s30
	s_mov_b32 s27, 0
	s_wait_alu 0xfffe
	s_cselect_b32 s26, s26, s2
.LBB19_6:
	s_mov_b32 s25, 0
	s_delay_alu instid0(SALU_CYCLE_1)
	s_add_nc_u64 s[30:31], s[28:29], s[24:25]
	s_mov_b32 s34, s25
	s_wait_alu 0xfffe
	s_add_nc_u64 s[30:31], s[30:31], -1
	s_wait_alu 0xfffe
	s_mov_b32 s35, s31
	s_delay_alu instid0(SALU_CYCLE_1)
	s_cmp_lg_u64 s[34:35], 0
	s_cbranch_scc0 .LBB19_61
; %bb.7:
	s_add_nc_u64 s[34:35], s[24:25], 0
	s_mov_b32 s43, s25
	s_xor_b64 s[34:35], s[34:35], 0
	s_mov_b32 s47, s25
	s_cvt_f32_u32 s2, s34
	s_cvt_f32_u32 s38, s35
	s_sub_nc_u64 s[40:41], 0, s[34:35]
	s_wait_alu 0xfffe
	s_delay_alu instid0(SALU_CYCLE_1) | instskip(SKIP_1) | instid1(SALU_CYCLE_2)
	s_fmamk_f32 s2, s38, 0x4f800000, s2
	s_wait_alu 0xfffe
	v_s_rcp_f32 s2, s2
	s_delay_alu instid0(TRANS32_DEP_1) | instskip(SKIP_1) | instid1(SALU_CYCLE_2)
	s_mul_f32 s2, s2, 0x5f7ffffc
	s_wait_alu 0xfffe
	s_mul_f32 s38, s2, 0x2f800000
	s_delay_alu instid0(SALU_CYCLE_3) | instskip(NEXT) | instid1(SALU_CYCLE_3)
	s_trunc_f32 s38, s38
	s_fmamk_f32 s2, s38, 0xcf800000, s2
	s_cvt_u32_f32 s39, s38
	s_wait_alu 0xfffe
	s_delay_alu instid0(SALU_CYCLE_1) | instskip(NEXT) | instid1(SALU_CYCLE_3)
	s_cvt_u32_f32 s38, s2
	s_mul_u64 s[44:45], s[40:41], s[38:39]
	s_delay_alu instid0(SALU_CYCLE_1)
	s_mul_hi_u32 s49, s38, s45
	s_mul_i32 s48, s38, s45
	s_mul_hi_u32 s42, s38, s44
	s_mul_i32 s46, s39, s44
	s_add_nc_u64 s[42:43], s[42:43], s[48:49]
	s_mul_hi_u32 s2, s39, s44
	s_mul_hi_u32 s50, s39, s45
	s_add_co_u32 s42, s42, s46
	s_wait_alu 0xfffe
	s_add_co_ci_u32 s46, s43, s2
	s_mul_i32 s44, s39, s45
	s_add_co_ci_u32 s45, s50, 0
	s_delay_alu instid0(SALU_CYCLE_1)
	s_add_nc_u64 s[42:43], s[46:47], s[44:45]
	s_mov_b32 s45, s25
	s_add_co_u32 s38, s38, s42
	s_cselect_b32 s2, -1, 0
	s_wait_alu 0xfffe
	s_cmp_lg_u32 s2, 0
	s_add_co_ci_u32 s39, s39, s43
	s_mov_b32 s43, s25
	s_mul_u64 s[40:41], s[40:41], s[38:39]
	s_delay_alu instid0(SALU_CYCLE_1)
	s_mul_hi_u32 s47, s38, s41
	s_mul_i32 s46, s38, s41
	s_mul_hi_u32 s42, s38, s40
	s_mul_i32 s44, s39, s40
	s_add_nc_u64 s[42:43], s[42:43], s[46:47]
	s_mul_hi_u32 s2, s39, s40
	s_mul_hi_u32 s48, s39, s41
	s_mul_i32 s40, s39, s41
	s_add_co_u32 s41, s42, s44
	s_wait_alu 0xfffe
	s_add_co_ci_u32 s44, s43, s2
	s_add_co_ci_u32 s41, s48, 0
	s_mov_b32 s43, s25
	s_add_nc_u64 s[40:41], s[44:45], s[40:41]
	s_delay_alu instid0(SALU_CYCLE_1) | instskip(SKIP_1) | instid1(SALU_CYCLE_1)
	s_add_co_u32 s2, s38, s40
	s_cselect_b32 s38, -1, 0
	s_cmp_lg_u32 s38, 0
	s_add_co_ci_u32 s44, s39, s41
	s_ashr_i32 s38, s31, 31
	s_delay_alu instid0(SALU_CYCLE_1) | instskip(NEXT) | instid1(SALU_CYCLE_1)
	s_mov_b32 s39, s38
	s_add_nc_u64 s[40:41], s[30:31], s[38:39]
	s_delay_alu instid0(SALU_CYCLE_1) | instskip(NEXT) | instid1(SALU_CYCLE_1)
	s_xor_b64 s[40:41], s[40:41], s[38:39]
	s_mul_hi_u32 s47, s40, s44
	s_mul_i32 s46, s40, s44
	s_wait_alu 0xfffe
	s_mul_hi_u32 s42, s40, s2
	s_mul_hi_u32 s48, s41, s2
	s_mul_i32 s2, s41, s2
	s_add_nc_u64 s[42:43], s[42:43], s[46:47]
	s_mul_hi_u32 s31, s41, s44
	s_wait_alu 0xfffe
	s_add_co_u32 s2, s42, s2
	s_mul_i32 s46, s41, s44
	s_add_co_ci_u32 s44, s43, s48
	s_add_co_ci_u32 s47, s31, 0
	s_delay_alu instid0(SALU_CYCLE_1) | instskip(NEXT) | instid1(SALU_CYCLE_1)
	s_add_nc_u64 s[42:43], s[44:45], s[46:47]
	s_mul_u64 s[44:45], s[34:35], s[42:43]
	s_delay_alu instid0(SALU_CYCLE_1)
	s_sub_co_u32 s2, s40, s44
	s_cselect_b32 s31, -1, 0
	s_sub_co_i32 s40, s41, s45
	s_wait_alu 0xfffe
	s_cmp_lg_u32 s31, 0
	s_sub_co_ci_u32 s40, s40, s35
	s_sub_co_u32 s44, s2, s34
	s_cselect_b32 s46, -1, 0
	s_delay_alu instid0(SALU_CYCLE_1) | instskip(SKIP_2) | instid1(SALU_CYCLE_1)
	s_cmp_lg_u32 s46, 0
	s_add_nc_u64 s[46:47], s[42:43], 1
	s_sub_co_ci_u32 s40, s40, 0
	s_cmp_ge_u32 s40, s35
	s_cselect_b32 s48, -1, 0
	s_cmp_ge_u32 s44, s34
	s_cselect_b32 s44, -1, 0
	s_cmp_eq_u32 s40, s35
	s_cselect_b32 s40, s44, s48
	s_add_nc_u64 s[48:49], s[42:43], 2
	s_cmp_lg_u32 s40, 0
	s_cselect_b32 s40, s48, s46
	s_cselect_b32 s44, s49, s47
	s_cmp_lg_u32 s31, 0
	s_sub_co_ci_u32 s31, s41, s45
	s_wait_alu 0xfffe
	s_cmp_ge_u32 s31, s35
	s_cselect_b32 s41, -1, 0
	s_cmp_ge_u32 s2, s34
	s_cselect_b32 s2, -1, 0
	s_cmp_eq_u32 s31, s35
	s_wait_alu 0xfffe
	s_cselect_b32 s2, s2, s41
	s_wait_alu 0xfffe
	s_cmp_lg_u32 s2, 0
	s_cselect_b32 s35, s44, s43
	s_cselect_b32 s34, s40, s42
	s_xor_b64 s[38:39], s[38:39], 0
	s_delay_alu instid0(SALU_CYCLE_1) | instskip(NEXT) | instid1(SALU_CYCLE_1)
	s_xor_b64 s[34:35], s[34:35], s[38:39]
	s_sub_nc_u64 s[34:35], s[34:35], s[38:39]
	s_and_not1_b32 vcc_lo, exec_lo, s25
	s_cbranch_vccnz .LBB19_9
.LBB19_8:
	v_cvt_f32_u32_e32 v0, s24
	s_sub_co_i32 s25, 0, s24
	s_mov_b32 s35, 0
	s_delay_alu instid0(VALU_DEP_1) | instskip(NEXT) | instid1(TRANS32_DEP_1)
	v_rcp_iflag_f32_e32 v0, v0
	v_mul_f32_e32 v0, 0x4f7ffffe, v0
	s_delay_alu instid0(VALU_DEP_1) | instskip(NEXT) | instid1(VALU_DEP_1)
	v_cvt_u32_f32_e32 v0, v0
	v_readfirstlane_b32 s2, v0
	s_wait_alu 0xfffe
	s_mul_i32 s25, s25, s2
	s_wait_alu 0xfffe
	s_mul_hi_u32 s25, s2, s25
	s_wait_alu 0xfffe
	s_add_co_i32 s2, s2, s25
	s_wait_alu 0xfffe
	s_mul_hi_u32 s2, s30, s2
	s_wait_alu 0xfffe
	s_mul_i32 s25, s2, s24
	s_wait_alu 0xfffe
	s_sub_co_i32 s25, s30, s25
	s_add_co_i32 s30, s2, 1
	s_wait_alu 0xfffe
	s_sub_co_i32 s31, s25, s24
	s_cmp_ge_u32 s25, s24
	s_cselect_b32 s2, s30, s2
	s_wait_alu 0xfffe
	s_cselect_b32 s25, s31, s25
	s_add_co_i32 s30, s2, 1
	s_wait_alu 0xfffe
	s_cmp_ge_u32 s25, s24
	s_cselect_b32 s34, s30, s2
.LBB19_9:
	s_lshr_b32 s2, ttmp7, 16
	s_bfe_i64 s[24:25], s[26:27], 0x200000
	s_wait_alu 0xfffe
	v_mad_co_u64_u32 v[0:1], null, s2, s26, v[1:2]
	s_mov_b32 s2, exec_lo
	v_ashrrev_i32_e32 v1, 31, v0
	v_add_co_u32 v5, vcc_lo, s24, v0
	s_delay_alu instid0(VALU_DEP_1) | instskip(NEXT) | instid1(VALU_DEP_1)
	v_add_co_ci_u32_e64 v6, null, s25, v1, vcc_lo
	v_cmp_gt_i64_e32 vcc_lo, s[22:23], v[5:6]
	s_wait_alu 0xfffd
	v_cndmask_b32_e32 v19, s22, v5, vcc_lo
	s_delay_alu instid0(VALU_DEP_1)
	v_cmpx_lt_i32_e64 v0, v19
	s_cbranch_execz .LBB19_59
; %bb.10:
	s_and_b32 s2, ttmp7, 0xffff
	s_bfe_i64 s[30:31], s[34:35], 0x200000
	s_wait_alu 0xfffe
	v_mad_co_u64_u32 v[1:2], null, s2, s34, v[2:3]
	s_mul_i32 s2, s3, s37
	s_add_co_i32 s34, s3, 1
	s_wait_alu 0xfffe
	s_sub_co_i32 s2, ttmp9, s2
	s_clause 0x1
	s_load_b128 s[24:27], s[0:1], 0x0
	s_load_b64 s[0:1], s[0:1], 0x70
	s_sub_co_i32 s35, s2, s37
	s_cmp_ge_u32 s2, s37
	v_ashrrev_i32_e32 v3, 31, v1
	s_cselect_b32 s3, s34, s3
	s_wait_alu 0xfffe
	s_cselect_b32 s2, s35, s2
	s_add_co_i32 s34, s3, 1
	s_wait_alu 0xfffe
	s_cmp_ge_u32 s2, s37
	v_add_co_u32 v2, vcc_lo, s30, v1
	s_cselect_b32 s38, s34, s3
	s_mul_u64 s[22:23], s[22:23], s[20:21]
	s_mul_i32 s2, s38, s37
	s_wait_alu 0xfffd
	v_add_co_ci_u32_e64 v3, null, s31, v3, vcc_lo
	s_wait_alu 0xfffe
	s_sub_co_i32 s2, ttmp9, s2
	s_mul_i32 s30, s13, s12
	s_wait_alu 0xfffe
	s_ashr_i32 s3, s2, 31
	s_mul_u64 s[22:23], s[22:23], s[28:29]
	s_mul_i32 s30, s30, s2
	s_wait_alu 0xfffe
	s_mul_u64 s[2:3], s[22:23], s[2:3]
	v_cmp_gt_i64_e32 vcc_lo, s[28:29], v[2:3]
	s_wait_alu 0xfffe
	s_lshl_b64 s[2:3], s[2:3], 2
	s_abs_i32 s29, s16
	s_wait_kmcnt 0x0
	s_wait_alu 0xfffe
	s_add_nc_u64 s[22:23], s[0:1], s[2:3]
	s_cvt_f32_u32 s2, s29
	s_add_co_i32 s3, s14, -1
	s_wait_alu 0xfffd
	v_cndmask_b32_e32 v20, s28, v2, vcc_lo
	v_mad_co_u64_u32 v[2:3], null, s38, s36, v[4:5]
	s_wait_alu 0xfffe
	v_rcp_iflag_f32_e32 v5, s2
	s_abs_i32 s14, s17
	s_ashr_i32 s31, s30, 31
	s_cvt_f32_u32 s2, s14
	s_wait_alu 0xfffe
	s_mul_u64 s[30:31], s[20:21], s[30:31]
	s_add_co_i32 s38, s38, s9
	s_wait_alu 0xfffe
	s_lshl_b64 s[0:1], s[30:31], 2
	v_rcp_iflag_f32_e32 v6, s2
	s_add_nc_u64 s[24:25], s[24:25], s[0:1]
	s_lshl_b64 s[34:35], s[30:31], 3
	v_readfirstlane_b32 s1, v5
	v_mul_lo_u32 v5, s10, v7
	s_mul_i32 s30, s4, s3
	s_sub_co_i32 s3, 0, s29
	v_ashrrev_i32_e32 v3, 31, v2
	s_mul_f32 s1, s1, 0x4f7ffffe
	v_lshlrev_b32_e32 v7, 2, v4
	v_readfirstlane_b32 s2, v6
	s_wait_alu 0xfffe
	s_add_nc_u64 s[26:27], s[26:27], s[34:35]
	v_mul_lo_u32 v5, v5, s36
	s_cvt_u32_f32 s1, s1
	s_add_co_i32 s0, s15, -1
	s_mul_f32 s2, s2, 0x4f7ffffe
	v_mul_lo_u32 v21, s6, v2
	s_mul_i32 s3, s3, s1
	s_mul_i32 s5, s5, s0
	s_wait_alu 0xfffe
	s_mul_hi_u32 s3, s1, s3
	s_cvt_u32_f32 s2, s2
	v_dual_mov_b32 v23, 0 :: v_dual_lshlrev_b32 v6, 2, v5
	s_wait_alu 0xfffe
	s_add_co_i32 s35, s1, s3
	s_sub_co_i32 s1, 0, s14
	v_mad_co_u64_u32 v[4:5], null, s38, s36, v[4:5]
	v_cmp_gt_i64_e64 s0, s[20:21], v[2:3]
	s_mul_i32 s1, s1, s2
	v_add3_u32 v22, v6, v7, 0
	s_mul_i32 s34, s9, s36
	s_mul_hi_u32 s1, s2, s1
	s_not_b32 s31, s30
	s_not_b32 s15, s5
	s_ashr_i32 s10, s16, 31
	s_mov_b32 s16, 0
	s_ashr_i32 s17, s17, 31
	s_add_co_i32 s9, s2, s1
	s_wait_alu 0xfffe
	s_mul_i32 s6, s34, s6
	s_lshl_b32 s36, s36, 2
	v_cmp_lt_i32_e32 vcc_lo, v1, v20
                                        ; implicit-def: $vgpr24
                                        ; implicit-def: $vgpr25
                                        ; implicit-def: $vgpr26
                                        ; implicit-def: $vgpr27
	s_branch .LBB19_13
.LBB19_11:                              ;   in Loop: Header=BB19_13 Depth=1
	s_or_b32 exec_lo, exec_lo, s38
.LBB19_12:                              ;   in Loop: Header=BB19_13 Depth=1
	s_wait_alu 0xfffe
	s_or_b32 exec_lo, exec_lo, s37
	v_add_nc_u32_e32 v0, s33, v0
	s_delay_alu instid0(VALU_DEP_1)
	v_cmp_ge_i32_e64 s1, v0, v19
	s_or_b32 s16, s1, s16
	s_wait_alu 0xfffe
	s_and_not1_b32 exec_lo, exec_lo, s16
	s_cbranch_execz .LBB19_59
.LBB19_13:                              ; =>This Loop Header: Depth=1
                                        ;     Child Loop BB19_19 Depth 2
                                        ;       Child Loop BB19_28 Depth 3
                                        ;         Child Loop BB19_31 Depth 4
                                        ;           Child Loop BB19_34 Depth 5
                                        ;       Child Loop BB19_40 Depth 3
                                        ;       Child Loop BB19_51 Depth 3
	;; [unrolled: 1-line block ×3, first 2 shown]
	v_dual_mov_b32 v28, 0 :: v_dual_add_nc_u32 v5, s18, v0
	s_mov_b32 s2, exec_lo
	s_delay_alu instid0(VALU_DEP_1)
	v_cmpx_lt_i32_e64 s30, v5
	s_cbranch_execz .LBB19_15
; %bb.14:                               ;   in Loop: Header=BB19_13 Depth=1
	v_add_nc_u32_e32 v6, s31, v5
	s_delay_alu instid0(VALU_DEP_1) | instskip(NEXT) | instid1(VALU_DEP_1)
	v_sub_nc_u32_e32 v7, 0, v6
	v_max_i32_e32 v7, v6, v7
	v_ashrrev_i32_e32 v6, 31, v6
	s_delay_alu instid0(VALU_DEP_2) | instskip(NEXT) | instid1(VALU_DEP_2)
	v_mul_hi_u32 v8, v7, s35
	v_xor_b32_e32 v6, s10, v6
	s_delay_alu instid0(VALU_DEP_2) | instskip(NEXT) | instid1(VALU_DEP_1)
	v_mul_lo_u32 v9, v8, s29
	v_sub_nc_u32_e32 v7, v7, v9
	v_add_nc_u32_e32 v9, 1, v8
	s_delay_alu instid0(VALU_DEP_2) | instskip(SKIP_2) | instid1(VALU_DEP_1)
	v_subrev_nc_u32_e32 v10, s29, v7
	v_cmp_le_u32_e64 s1, s29, v7
	s_wait_alu 0xf1ff
	v_cndmask_b32_e64 v8, v8, v9, s1
	s_delay_alu instid0(VALU_DEP_3) | instskip(NEXT) | instid1(VALU_DEP_2)
	v_cndmask_b32_e64 v7, v7, v10, s1
	v_add_nc_u32_e32 v9, 1, v8
	s_delay_alu instid0(VALU_DEP_2) | instskip(SKIP_1) | instid1(VALU_DEP_1)
	v_cmp_le_u32_e64 s1, s29, v7
	s_wait_alu 0xf1ff
	v_cndmask_b32_e64 v7, v8, v9, s1
	s_delay_alu instid0(VALU_DEP_1) | instskip(NEXT) | instid1(VALU_DEP_1)
	v_xor_b32_e32 v7, v7, v6
	v_sub_nc_u32_e32 v6, v7, v6
	s_delay_alu instid0(VALU_DEP_1)
	v_add_nc_u32_e32 v28, 1, v6
.LBB19_15:                              ;   in Loop: Header=BB19_13 Depth=1
	s_wait_alu 0xfffe
	s_or_b32 exec_lo, exec_lo, s2
	s_and_saveexec_b32 s37, vcc_lo
	s_cbranch_execz .LBB19_12
; %bb.16:                               ;   in Loop: Header=BB19_13 Depth=1
	v_sub_nc_u32_e32 v6, 0, v5
	v_add_nc_u32_e32 v10, 1, v28
	v_mul_lo_u32 v30, v0, s28
	s_mov_b32 s38, 0
	v_mov_b32_e32 v34, v1
	v_max_i32_e32 v6, v5, v6
	v_ashrrev_i32_e32 v5, 31, v5
	v_mul_lo_u32 v31, s7, v10
	s_delay_alu instid0(VALU_DEP_3) | instskip(NEXT) | instid1(VALU_DEP_1)
	v_mul_hi_u32 v7, v6, s35
	v_mul_lo_u32 v8, v7, s29
	s_delay_alu instid0(VALU_DEP_1) | instskip(SKIP_1) | instid1(VALU_DEP_2)
	v_sub_nc_u32_e32 v6, v6, v8
	v_add_nc_u32_e32 v8, 1, v7
	v_subrev_nc_u32_e32 v9, s29, v6
	v_cmp_le_u32_e64 s1, s29, v6
	s_wait_alu 0xf1ff
	s_delay_alu instid0(VALU_DEP_1) | instskip(NEXT) | instid1(VALU_DEP_3)
	v_cndmask_b32_e64 v7, v7, v8, s1
	v_cndmask_b32_e64 v6, v6, v9, s1
	v_xor_b32_e32 v9, s10, v5
	s_delay_alu instid0(VALU_DEP_3) | instskip(NEXT) | instid1(VALU_DEP_3)
	v_add_nc_u32_e32 v8, 1, v7
	v_cmp_le_u32_e64 s1, s29, v6
	s_wait_alu 0xf1ff
	s_delay_alu instid0(VALU_DEP_1) | instskip(NEXT) | instid1(VALU_DEP_1)
	v_cndmask_b32_e64 v5, v7, v8, s1
	v_xor_b32_e32 v6, v5, v9
	v_mul_lo_u32 v5, v28, s7
	s_delay_alu instid0(VALU_DEP_2) | instskip(NEXT) | instid1(VALU_DEP_2)
	v_sub_nc_u32_e32 v6, v6, v9
	v_add_nc_u32_e32 v8, s7, v5
	s_delay_alu instid0(VALU_DEP_2) | instskip(SKIP_1) | instid1(VALU_DEP_3)
	v_add_nc_u32_e32 v7, 1, v6
	v_ashrrev_i32_e32 v6, 31, v5
	v_ashrrev_i32_e32 v9, 31, v8
	s_delay_alu instid0(VALU_DEP_3) | instskip(NEXT) | instid1(VALU_DEP_3)
	v_min_i32_e32 v29, s12, v7
	v_lshlrev_b64_e32 v[6:7], 3, v[5:6]
	s_delay_alu instid0(VALU_DEP_3) | instskip(NEXT) | instid1(VALU_DEP_3)
	v_lshlrev_b64_e32 v[8:9], 3, v[8:9]
	v_sub_nc_u32_e32 v11, v29, v28
	v_cmp_eq_u32_e64 s3, v10, v29
	s_delay_alu instid0(VALU_DEP_4)
	v_add_co_u32 v32, s1, s26, v6
	s_wait_alu 0xf1ff
	v_add_co_ci_u32_e64 v33, null, s27, v7, s1
	v_cmp_gt_i32_e64 s4, 3, v11
	v_cmp_gt_i32_e64 s1, v29, v28
	v_cmp_lt_i32_e64 s2, v10, v29
	s_xor_b32 s39, s3, -1
	s_xor_b32 s40, s4, -1
	s_branch .LBB19_19
.LBB19_17:                              ;   in Loop: Header=BB19_19 Depth=2
	s_or_b32 exec_lo, exec_lo, s41
.LBB19_18:                              ;   in Loop: Header=BB19_19 Depth=2
	s_wait_alu 0xfffe
	s_or_b32 exec_lo, exec_lo, s4
	v_add_nc_u32_e32 v34, s11, v34
	s_delay_alu instid0(VALU_DEP_1)
	v_cmp_ge_i32_e64 s3, v34, v20
	s_or_b32 s38, s3, s38
	s_wait_alu 0xfffe
	s_and_not1_b32 exec_lo, exec_lo, s38
	s_cbranch_execz .LBB19_11
.LBB19_19:                              ;   Parent Loop BB19_13 Depth=1
                                        ; =>  This Loop Header: Depth=2
                                        ;       Child Loop BB19_28 Depth 3
                                        ;         Child Loop BB19_31 Depth 4
                                        ;           Child Loop BB19_34 Depth 5
                                        ;       Child Loop BB19_40 Depth 3
                                        ;       Child Loop BB19_51 Depth 3
	;; [unrolled: 1-line block ×3, first 2 shown]
	v_dual_mov_b32 v17, 0 :: v_dual_add_nc_u32 v10, s19, v34
	s_mov_b32 s4, exec_lo
	s_delay_alu instid0(VALU_DEP_1)
	v_cmpx_lt_i32_e64 s5, v10
	s_cbranch_execz .LBB19_21
; %bb.20:                               ;   in Loop: Header=BB19_19 Depth=2
	v_add_nc_u32_e32 v11, s15, v10
	s_delay_alu instid0(VALU_DEP_1) | instskip(NEXT) | instid1(VALU_DEP_1)
	v_sub_nc_u32_e32 v12, 0, v11
	v_max_i32_e32 v12, v11, v12
	v_ashrrev_i32_e32 v11, 31, v11
	s_delay_alu instid0(VALU_DEP_2) | instskip(NEXT) | instid1(VALU_DEP_2)
	v_mul_hi_u32 v13, v12, s9
	v_xor_b32_e32 v11, s17, v11
	s_delay_alu instid0(VALU_DEP_2) | instskip(NEXT) | instid1(VALU_DEP_1)
	v_mul_lo_u32 v14, v13, s14
	v_sub_nc_u32_e32 v12, v12, v14
	v_add_nc_u32_e32 v14, 1, v13
	s_delay_alu instid0(VALU_DEP_2) | instskip(SKIP_2) | instid1(VALU_DEP_1)
	v_subrev_nc_u32_e32 v15, s14, v12
	v_cmp_le_u32_e64 s3, s14, v12
	s_wait_alu 0xf1ff
	v_cndmask_b32_e64 v13, v13, v14, s3
	s_delay_alu instid0(VALU_DEP_3) | instskip(NEXT) | instid1(VALU_DEP_2)
	v_cndmask_b32_e64 v12, v12, v15, s3
	v_add_nc_u32_e32 v14, 1, v13
	s_delay_alu instid0(VALU_DEP_2) | instskip(SKIP_1) | instid1(VALU_DEP_1)
	v_cmp_le_u32_e64 s3, s14, v12
	s_wait_alu 0xf1ff
	v_cndmask_b32_e64 v12, v13, v14, s3
	s_delay_alu instid0(VALU_DEP_1) | instskip(NEXT) | instid1(VALU_DEP_1)
	v_xor_b32_e32 v12, v12, v11
	v_sub_nc_u32_e32 v11, v12, v11
	s_delay_alu instid0(VALU_DEP_1)
	v_add_nc_u32_e32 v17, 1, v11
.LBB19_21:                              ;   in Loop: Header=BB19_19 Depth=2
	s_wait_alu 0xfffe
	s_or_b32 exec_lo, exec_lo, s4
	v_sub_nc_u32_e32 v11, 0, v10
	s_delay_alu instid0(VALU_DEP_1) | instskip(SKIP_1) | instid1(VALU_DEP_2)
	v_max_i32_e32 v11, v10, v11
	v_ashrrev_i32_e32 v10, 31, v10
	v_mul_hi_u32 v12, v11, s9
	s_delay_alu instid0(VALU_DEP_2) | instskip(NEXT) | instid1(VALU_DEP_2)
	v_xor_b32_e32 v10, s17, v10
	v_mul_lo_u32 v13, v12, s14
	s_delay_alu instid0(VALU_DEP_1) | instskip(SKIP_1) | instid1(VALU_DEP_2)
	v_sub_nc_u32_e32 v11, v11, v13
	v_add_nc_u32_e32 v13, 1, v12
	v_subrev_nc_u32_e32 v14, s14, v11
	v_cmp_le_u32_e64 s3, s14, v11
	s_wait_alu 0xf1ff
	s_delay_alu instid0(VALU_DEP_1) | instskip(NEXT) | instid1(VALU_DEP_3)
	v_cndmask_b32_e64 v12, v12, v13, s3
	v_cndmask_b32_e64 v11, v11, v14, s3
	s_delay_alu instid0(VALU_DEP_2) | instskip(NEXT) | instid1(VALU_DEP_2)
	v_add_nc_u32_e32 v13, 1, v12
	v_cmp_le_u32_e64 s3, s14, v11
	s_wait_alu 0xf1ff
	s_delay_alu instid0(VALU_DEP_1) | instskip(NEXT) | instid1(VALU_DEP_1)
	v_cndmask_b32_e64 v11, v12, v13, s3
	v_xor_b32_e32 v11, v11, v10
	s_delay_alu instid0(VALU_DEP_1) | instskip(SKIP_1) | instid1(VALU_DEP_2)
	v_sub_nc_u32_e32 v10, v11, v10
	v_add_nc_u32_e32 v11, 1, v17
	v_add_nc_u32_e32 v10, 1, v10
	s_delay_alu instid0(VALU_DEP_1) | instskip(SKIP_1) | instid1(VALU_DEP_2)
	v_min_i32_e32 v18, s13, v10
	v_add_nc_u32_e32 v10, v34, v30
	v_cmp_ne_u32_e64 s3, v11, v18
	s_or_b32 s3, s39, s3
	s_wait_alu 0xfffe
	s_and_saveexec_b32 s4, s3
	s_wait_alu 0xfffe
	s_xor_b32 s41, exec_lo, s4
	s_cbranch_execz .LBB19_53
; %bb.22:                               ;   in Loop: Header=BB19_19 Depth=2
	v_sub_nc_u32_e32 v12, v18, v17
	s_delay_alu instid0(VALU_DEP_1)
	v_cmp_lt_i32_e64 s3, 2, v12
	s_or_b32 s3, s40, s3
	s_wait_alu 0xfffe
	s_and_saveexec_b32 s4, s3
	s_wait_alu 0xfffe
	s_xor_b32 s42, exec_lo, s4
	s_cbranch_execnz .LBB19_25
; %bb.23:                               ;   in Loop: Header=BB19_19 Depth=2
	s_and_not1_saveexec_b32 s42, s42
	s_cbranch_execnz .LBB19_37
.LBB19_24:                              ;   in Loop: Header=BB19_19 Depth=2
	s_or_b32 exec_lo, exec_lo, s42
	s_and_saveexec_b32 s42, s0
	s_cbranch_execnz .LBB19_50
	s_branch .LBB19_52
.LBB19_25:                              ;   in Loop: Header=BB19_19 Depth=2
	s_and_saveexec_b32 s43, s1
	s_cbranch_execz .LBB19_36
; %bb.26:                               ;   in Loop: Header=BB19_19 Depth=2
	v_mad_co_u64_u32 v[12:13], null, s8, v17, v[5:6]
	v_cmp_gt_i32_e64 s3, v18, v17
	v_ashrrev_i32_e32 v11, 31, v10
	v_mov_b32_e32 v35, v28
	s_mov_b32 s44, 0
	s_branch .LBB19_28
.LBB19_27:                              ;   in Loop: Header=BB19_28 Depth=3
	s_or_b32 exec_lo, exec_lo, s45
	v_add_nc_u32_e32 v35, 1, v35
	v_add_nc_u32_e32 v12, s7, v12
	s_delay_alu instid0(VALU_DEP_2) | instskip(SKIP_1) | instid1(SALU_CYCLE_1)
	v_cmp_ge_i32_e64 s4, v35, v29
	s_or_b32 s44, s4, s44
	s_and_not1_b32 exec_lo, exec_lo, s44
	s_cbranch_execz .LBB19_36
.LBB19_28:                              ;   Parent Loop BB19_13 Depth=1
                                        ;     Parent Loop BB19_19 Depth=2
                                        ; =>    This Loop Header: Depth=3
                                        ;         Child Loop BB19_31 Depth 4
                                        ;           Child Loop BB19_34 Depth 5
	s_and_saveexec_b32 s45, s3
	s_cbranch_execz .LBB19_27
; %bb.29:                               ;   in Loop: Header=BB19_28 Depth=3
	v_mul_lo_u32 v13, v35, s7
	v_dual_mov_b32 v36, v12 :: v_dual_mov_b32 v39, v17
	s_mov_b32 s46, 0
	s_delay_alu instid0(VALU_DEP_2) | instskip(NEXT) | instid1(VALU_DEP_1)
	v_ashrrev_i32_e32 v14, 31, v13
	v_lshlrev_b64_e32 v[13:14], 3, v[13:14]
	s_delay_alu instid0(VALU_DEP_1) | instskip(SKIP_1) | instid1(VALU_DEP_2)
	v_add_co_u32 v37, s4, s26, v13
	s_wait_alu 0xf1ff
	v_add_co_ci_u32_e64 v38, null, s27, v14, s4
	s_branch .LBB19_31
.LBB19_30:                              ;   in Loop: Header=BB19_31 Depth=4
	s_or_b32 exec_lo, exec_lo, s47
	v_add_nc_u32_e32 v39, 1, v39
	v_add_nc_u32_e32 v36, s8, v36
	s_delay_alu instid0(VALU_DEP_2) | instskip(SKIP_1) | instid1(SALU_CYCLE_1)
	v_cmp_ge_i32_e64 s4, v39, v18
	s_or_b32 s46, s4, s46
	s_and_not1_b32 exec_lo, exec_lo, s46
	s_cbranch_execz .LBB19_27
.LBB19_31:                              ;   Parent Loop BB19_13 Depth=1
                                        ;     Parent Loop BB19_19 Depth=2
                                        ;       Parent Loop BB19_28 Depth=3
                                        ; =>      This Loop Header: Depth=4
                                        ;           Child Loop BB19_34 Depth 5
	s_and_saveexec_b32 s47, s0
	s_cbranch_execz .LBB19_30
; %bb.32:                               ;   in Loop: Header=BB19_31 Depth=4
	v_mul_lo_u32 v13, v39, s8
	v_mov_b32_e32 v40, v22
	s_mov_b32 s48, 0
	s_delay_alu instid0(VALU_DEP_2) | instskip(NEXT) | instid1(VALU_DEP_1)
	v_ashrrev_i32_e32 v14, 31, v13
	v_lshlrev_b64_e32 v[14:15], 3, v[13:14]
	v_mov_b32_e32 v13, v4
	s_delay_alu instid0(VALU_DEP_2) | instskip(SKIP_1) | instid1(VALU_DEP_3)
	v_add_co_u32 v41, s4, v37, v14
	s_wait_alu 0xf1ff
	v_add_co_ci_u32_e64 v42, null, v38, v15, s4
	v_mov_b32_e32 v15, v21
	s_branch .LBB19_34
.LBB19_33:                              ;   in Loop: Header=BB19_34 Depth=5
	s_wait_alu 0xfffe
	s_or_b32 exec_lo, exec_lo, s49
	v_ashrrev_i32_e32 v14, 31, v13
	v_add_nc_u32_e32 v15, s6, v15
	v_add_nc_u32_e32 v40, s36, v40
	s_delay_alu instid0(VALU_DEP_3)
	v_cmp_le_i64_e64 s4, s[20:21], v[13:14]
	v_add_nc_u32_e32 v13, s34, v13
	s_or_b32 s48, s4, s48
	s_wait_alu 0xfffe
	s_and_not1_b32 exec_lo, exec_lo, s48
	s_cbranch_execz .LBB19_30
.LBB19_34:                              ;   Parent Loop BB19_13 Depth=1
                                        ;     Parent Loop BB19_19 Depth=2
                                        ;       Parent Loop BB19_28 Depth=3
                                        ;         Parent Loop BB19_31 Depth=4
                                        ; =>        This Inner Loop Header: Depth=5
	s_delay_alu instid0(VALU_DEP_1) | instskip(SKIP_1) | instid1(VALU_DEP_1)
	v_ashrrev_i32_e32 v16, 31, v15
	s_mov_b32 s49, exec_lo
	v_lshlrev_b64_e32 v[43:44], 3, v[15:16]
	s_delay_alu instid0(VALU_DEP_1) | instskip(SKIP_1) | instid1(VALU_DEP_2)
	v_add_co_u32 v43, s4, v41, v43
	s_wait_alu 0xf1ff
	v_add_co_ci_u32_e64 v44, null, v42, v44, s4
	global_load_b64 v[43:44], v[43:44], off
	s_wait_loadcnt 0x0
	v_cmpx_eq_u64_e64 v[43:44], v[10:11]
	s_cbranch_execz .LBB19_33
; %bb.35:                               ;   in Loop: Header=BB19_34 Depth=5
	ds_load_b32 v16, v40
	v_add_nc_u32_e32 v43, v36, v15
	s_delay_alu instid0(VALU_DEP_1) | instskip(NEXT) | instid1(VALU_DEP_1)
	v_ashrrev_i32_e32 v44, 31, v43
	v_lshlrev_b64_e32 v[43:44], 2, v[43:44]
	s_delay_alu instid0(VALU_DEP_1) | instskip(SKIP_1) | instid1(VALU_DEP_2)
	v_add_co_u32 v43, s4, s24, v43
	s_wait_alu 0xf1ff
	v_add_co_ci_u32_e64 v44, null, s25, v44, s4
	global_load_b32 v14, v[43:44], off
	s_wait_loadcnt_dscnt 0x0
	v_add_f32_e32 v14, v14, v16
	ds_store_b32 v40, v14
	s_branch .LBB19_33
.LBB19_36:                              ;   in Loop: Header=BB19_19 Depth=2
	s_or_b32 exec_lo, exec_lo, s43
                                        ; implicit-def: $vgpr18
                                        ; implicit-def: $vgpr17
                                        ; implicit-def: $vgpr11
	s_and_not1_saveexec_b32 s42, s42
	s_cbranch_execz .LBB19_24
.LBB19_37:                              ;   in Loop: Header=BB19_19 Depth=2
	s_and_saveexec_b32 s43, s0
	s_cbranch_execz .LBB19_49
; %bb.38:                               ;   in Loop: Header=BB19_19 Depth=2
	v_mul_lo_u32 v12, v17, s8
	v_mov_b32_e32 v35, v22
	v_cmp_gt_i32_e64 s3, v18, v17
	v_cmp_lt_i32_e64 s4, v11, v18
	v_mov_b32_e32 v17, v21
	s_and_b32 s44, s1, s3
	v_add_nc_u32_e32 v14, s8, v12
	v_ashrrev_i32_e32 v13, 31, v12
	v_add_nc_u32_e32 v36, v31, v12
	v_add_nc_u32_e32 v37, v5, v12
	s_and_b32 s45, s1, s4
	v_ashrrev_i32_e32 v15, 31, v14
	v_add_nc_u32_e32 v38, v31, v14
	v_add_nc_u32_e32 v39, v5, v14
	v_lshlrev_b64_e32 v[11:12], 3, v[12:13]
	s_and_b32 s46, s2, s3
	v_lshlrev_b64_e32 v[13:14], 3, v[14:15]
	v_mov_b32_e32 v15, v4
	s_and_b32 s47, s2, s4
	s_mov_b32 s4, 0
	s_branch .LBB19_40
.LBB19_39:                              ;   in Loop: Header=BB19_40 Depth=3
	s_wait_alu 0xfffe
	s_or_b32 exec_lo, exec_lo, s51
	s_wait_loadcnt 0x0
	v_dual_add_f32 v16, 0, v27 :: v_dual_add_nc_u32 v17, s6, v17
	s_delay_alu instid0(VALU_DEP_1) | instskip(NEXT) | instid1(VALU_DEP_1)
	v_cndmask_b32_e64 v16, 0, v16, s48
	v_add_f32_e32 v18, v16, v26
	s_delay_alu instid0(VALU_DEP_1) | instskip(SKIP_2) | instid1(VALU_DEP_1)
	v_cndmask_b32_e64 v16, v16, v18, s50
	ds_load_b32 v18, v35
	v_add_f32_e32 v40, v16, v25
	v_cndmask_b32_e64 v16, v16, v40, s49
	s_delay_alu instid0(VALU_DEP_1) | instskip(NEXT) | instid1(VALU_DEP_1)
	v_add_f32_e32 v40, v16, v24
	v_cndmask_b32_e64 v40, v16, v40, s3
	v_ashrrev_i32_e32 v16, 31, v15
	s_wait_dscnt 0x0
	s_delay_alu instid0(VALU_DEP_2) | instskip(NEXT) | instid1(VALU_DEP_2)
	v_add_f32_e32 v18, v40, v18
	v_cmp_le_i64_e64 s3, s[20:21], v[15:16]
	v_add_nc_u32_e32 v15, s34, v15
	ds_store_b32 v35, v18
	v_add_nc_u32_e32 v35, s36, v35
	s_or_b32 s4, s3, s4
	s_wait_alu 0xfffe
	s_and_not1_b32 exec_lo, exec_lo, s4
	s_cbranch_execz .LBB19_48
.LBB19_40:                              ;   Parent Loop BB19_13 Depth=1
                                        ;     Parent Loop BB19_19 Depth=2
                                        ; =>    This Inner Loop Header: Depth=3
	v_ashrrev_i32_e32 v18, 31, v17
	s_mov_b32 s48, 0
	s_delay_alu instid0(VALU_DEP_1) | instskip(NEXT) | instid1(VALU_DEP_1)
	v_lshlrev_b64_e32 v[40:41], 3, v[17:18]
	v_add_co_u32 v16, s3, s26, v40
	s_wait_alu 0xf1ff
	s_delay_alu instid0(VALU_DEP_2) | instskip(NEXT) | instid1(VALU_DEP_2)
	v_add_co_ci_u32_e64 v18, null, s27, v41, s3
	v_add_co_u32 v40, s3, v16, v6
	s_wait_alu 0xf1ff
	s_delay_alu instid0(VALU_DEP_2)
	v_add_co_ci_u32_e64 v41, null, v18, v7, s3
	s_and_saveexec_b32 s49, s44
	s_cbranch_execz .LBB19_42
; %bb.41:                               ;   in Loop: Header=BB19_40 Depth=3
	v_add_nc_u32_e32 v42, v37, v17
	v_add_co_u32 v44, s3, v40, v11
	s_wait_alu 0xf1ff
	v_add_co_ci_u32_e64 v45, null, v41, v12, s3
	s_delay_alu instid0(VALU_DEP_3) | instskip(SKIP_2) | instid1(VALU_DEP_1)
	v_ashrrev_i32_e32 v43, 31, v42
	global_load_b32 v44, v[44:45], off
	v_lshlrev_b64_e32 v[42:43], 2, v[42:43]
	v_add_co_u32 v42, s3, s24, v42
	s_wait_alu 0xf1ff
	s_delay_alu instid0(VALU_DEP_2)
	v_add_co_ci_u32_e64 v43, null, s25, v43, s3
	global_load_b32 v27, v[42:43], off
	s_wait_loadcnt 0x1
	v_cmp_eq_u32_e64 s3, v10, v44
	s_and_b32 s48, s3, exec_lo
.LBB19_42:                              ;   in Loop: Header=BB19_40 Depth=3
	s_wait_alu 0xfffe
	s_or_b32 exec_lo, exec_lo, s49
	s_mov_b32 s49, 0
	s_mov_b32 s50, 0
	s_and_saveexec_b32 s51, s45
	s_cbranch_execz .LBB19_44
; %bb.43:                               ;   in Loop: Header=BB19_40 Depth=3
	v_add_nc_u32_e32 v42, v39, v17
	v_add_co_u32 v40, s3, v40, v13
	s_wait_alu 0xf1ff
	v_add_co_ci_u32_e64 v41, null, v41, v14, s3
	s_delay_alu instid0(VALU_DEP_3) | instskip(SKIP_2) | instid1(VALU_DEP_1)
	v_ashrrev_i32_e32 v43, 31, v42
	global_load_b32 v44, v[40:41], off
	v_lshlrev_b64_e32 v[42:43], 2, v[42:43]
	v_add_co_u32 v40, s3, s24, v42
	s_wait_alu 0xf1ff
	s_delay_alu instid0(VALU_DEP_2)
	v_add_co_ci_u32_e64 v41, null, s25, v43, s3
	global_load_b32 v26, v[40:41], off
	s_wait_loadcnt 0x1
	v_cmp_eq_u32_e64 s3, v10, v44
	s_and_b32 s50, s3, exec_lo
.LBB19_44:                              ;   in Loop: Header=BB19_40 Depth=3
	s_wait_alu 0xfffe
	s_or_b32 exec_lo, exec_lo, s51
	v_add_co_u32 v16, s3, v16, v8
	s_wait_alu 0xf1ff
	v_add_co_ci_u32_e64 v18, null, v18, v9, s3
	s_and_saveexec_b32 s51, s46
	s_cbranch_execz .LBB19_46
; %bb.45:                               ;   in Loop: Header=BB19_40 Depth=3
	v_add_nc_u32_e32 v40, v36, v17
	v_add_co_u32 v42, s3, v16, v11
	s_wait_alu 0xf1ff
	v_add_co_ci_u32_e64 v43, null, v18, v12, s3
	s_delay_alu instid0(VALU_DEP_3) | instskip(SKIP_2) | instid1(VALU_DEP_1)
	v_ashrrev_i32_e32 v41, 31, v40
	global_load_b32 v42, v[42:43], off
	v_lshlrev_b64_e32 v[40:41], 2, v[40:41]
	v_add_co_u32 v40, s3, s24, v40
	s_wait_alu 0xf1ff
	s_delay_alu instid0(VALU_DEP_2)
	v_add_co_ci_u32_e64 v41, null, s25, v41, s3
	global_load_b32 v25, v[40:41], off
	s_wait_loadcnt 0x1
	v_cmp_eq_u32_e64 s3, v10, v42
	s_and_b32 s49, s3, exec_lo
.LBB19_46:                              ;   in Loop: Header=BB19_40 Depth=3
	s_wait_alu 0xfffe
	s_or_b32 exec_lo, exec_lo, s51
	s_mov_b32 s3, 0
	s_and_saveexec_b32 s51, s47
	s_cbranch_execz .LBB19_39
; %bb.47:                               ;   in Loop: Header=BB19_40 Depth=3
	v_add_nc_u32_e32 v40, v38, v17
	v_add_co_u32 v42, s3, v16, v13
	s_wait_alu 0xf1fe
	v_add_co_ci_u32_e64 v43, null, v18, v14, s3
	s_delay_alu instid0(VALU_DEP_3) | instskip(SKIP_2) | instid1(VALU_DEP_1)
	v_ashrrev_i32_e32 v41, 31, v40
	global_load_b32 v16, v[42:43], off
	v_lshlrev_b64_e32 v[40:41], 2, v[40:41]
	v_add_co_u32 v40, s3, s24, v40
	s_wait_alu 0xf1ff
	s_delay_alu instid0(VALU_DEP_2)
	v_add_co_ci_u32_e64 v41, null, s25, v41, s3
	global_load_b32 v24, v[40:41], off
	s_wait_loadcnt 0x1
	v_cmp_eq_u32_e64 s3, v10, v16
	s_and_b32 s3, s3, exec_lo
	s_branch .LBB19_39
.LBB19_48:                              ;   in Loop: Header=BB19_19 Depth=2
	s_or_b32 exec_lo, exec_lo, s4
.LBB19_49:                              ;   in Loop: Header=BB19_19 Depth=2
	s_delay_alu instid0(SALU_CYCLE_1) | instskip(NEXT) | instid1(SALU_CYCLE_1)
	s_or_b32 exec_lo, exec_lo, s43
	s_or_b32 exec_lo, exec_lo, s42
	s_and_saveexec_b32 s42, s0
	s_cbranch_execz .LBB19_52
.LBB19_50:                              ;   in Loop: Header=BB19_19 Depth=2
	v_ashrrev_i32_e32 v12, 31, v10
	v_mul_lo_u32 v13, s21, v10
	v_mad_co_u64_u32 v[10:11], null, s20, v10, 0
	v_mov_b32_e32 v14, v22
	s_delay_alu instid0(VALU_DEP_4) | instskip(SKIP_1) | instid1(VALU_DEP_1)
	v_mul_lo_u32 v12, s20, v12
	s_mov_b32 s43, 0
	v_add3_u32 v11, v11, v12, v13
	s_delay_alu instid0(VALU_DEP_1) | instskip(SKIP_1) | instid1(VALU_DEP_2)
	v_lshlrev_b64_e32 v[11:12], 2, v[10:11]
	v_mov_b32_e32 v10, v4
	v_add_co_u32 v15, s3, s22, v11
	s_wait_alu 0xf1ff
	s_delay_alu instid0(VALU_DEP_3)
	v_add_co_ci_u32_e64 v16, null, s23, v12, s3
	v_dual_mov_b32 v13, v3 :: v_dual_mov_b32 v12, v2
.LBB19_51:                              ;   Parent Loop BB19_13 Depth=1
                                        ;     Parent Loop BB19_19 Depth=2
                                        ; =>    This Inner Loop Header: Depth=3
	ds_load_b32 v35, v14
	v_ashrrev_i32_e32 v11, 31, v10
	v_lshlrev_b64_e32 v[17:18], 2, v[12:13]
	ds_store_b32 v14, v23
	v_dual_mov_b32 v13, v11 :: v_dual_add_nc_u32 v14, s36, v14
	v_cmp_le_i64_e64 s3, s[20:21], v[10:11]
	v_add_co_u32 v17, s4, v15, v17
	v_mov_b32_e32 v12, v10
	s_wait_alu 0xf1ff
	v_add_co_ci_u32_e64 v18, null, v16, v18, s4
	v_add_nc_u32_e32 v10, s34, v10
	s_or_b32 s43, s3, s43
	s_wait_dscnt 0x1
	global_store_b32 v[17:18], v35, off
	s_and_not1_b32 exec_lo, exec_lo, s43
	s_cbranch_execnz .LBB19_51
.LBB19_52:                              ;   in Loop: Header=BB19_19 Depth=2
	s_or_b32 exec_lo, exec_lo, s42
                                        ; implicit-def: $vgpr17
                                        ; implicit-def: $vgpr10
.LBB19_53:                              ;   in Loop: Header=BB19_19 Depth=2
	s_and_not1_saveexec_b32 s4, s41
	s_cbranch_execz .LBB19_18
; %bb.54:                               ;   in Loop: Header=BB19_19 Depth=2
	s_and_saveexec_b32 s41, s0
	s_cbranch_execz .LBB19_17
; %bb.55:                               ;   in Loop: Header=BB19_19 Depth=2
	v_ashrrev_i32_e32 v11, 31, v10
	v_mul_lo_u32 v13, v17, s8
	v_mul_lo_u32 v12, s21, v10
	v_mad_co_u64_u32 v[15:16], null, s20, v10, 0
	s_delay_alu instid0(VALU_DEP_4) | instskip(SKIP_1) | instid1(VALU_DEP_4)
	v_mul_lo_u32 v17, s20, v11
	s_mov_b32 s42, 0
	v_ashrrev_i32_e32 v14, 31, v13
	v_add_nc_u32_e32 v18, v13, v5
	s_delay_alu instid0(VALU_DEP_3) | instskip(NEXT) | instid1(VALU_DEP_3)
	v_add3_u32 v16, v16, v17, v12
	v_lshlrev_b64_e32 v[35:36], 3, v[13:14]
	v_mov_b32_e32 v12, v4
	v_mov_b32_e32 v14, v21
	s_delay_alu instid0(VALU_DEP_4) | instskip(NEXT) | instid1(VALU_DEP_4)
	v_lshlrev_b64_e32 v[15:16], 2, v[15:16]
	v_add_co_u32 v35, s3, v32, v35
	s_wait_alu 0xf1ff
	v_add_co_ci_u32_e64 v36, null, v33, v36, s3
	s_delay_alu instid0(VALU_DEP_3)
	v_add_co_u32 v37, s3, s22, v15
	s_wait_alu 0xf1ff
	v_add_co_ci_u32_e64 v38, null, s23, v16, s3
	v_dual_mov_b32 v17, v3 :: v_dual_mov_b32 v16, v2
	s_branch .LBB19_57
.LBB19_56:                              ;   in Loop: Header=BB19_57 Depth=3
	s_or_b32 exec_lo, exec_lo, s43
	v_ashrrev_i32_e32 v13, 31, v12
	v_add_nc_u32_e32 v14, s6, v14
	s_delay_alu instid0(VALU_DEP_2) | instskip(SKIP_3) | instid1(SALU_CYCLE_1)
	v_cmp_le_i64_e64 s3, s[20:21], v[12:13]
	v_dual_mov_b32 v17, v13 :: v_dual_mov_b32 v16, v12
	v_add_nc_u32_e32 v12, s34, v12
	s_or_b32 s42, s3, s42
	s_and_not1_b32 exec_lo, exec_lo, s42
	s_cbranch_execz .LBB19_17
.LBB19_57:                              ;   Parent Loop BB19_13 Depth=1
                                        ;     Parent Loop BB19_19 Depth=2
                                        ; =>    This Inner Loop Header: Depth=3
	v_ashrrev_i32_e32 v15, 31, v14
	s_mov_b32 s43, exec_lo
	s_delay_alu instid0(VALU_DEP_1) | instskip(NEXT) | instid1(VALU_DEP_1)
	v_lshlrev_b64_e32 v[39:40], 3, v[14:15]
	v_add_co_u32 v39, s3, v35, v39
	s_wait_alu 0xf1ff
	s_delay_alu instid0(VALU_DEP_2)
	v_add_co_ci_u32_e64 v40, null, v36, v40, s3
	global_load_b64 v[39:40], v[39:40], off
	s_wait_loadcnt 0x0
	v_cmpx_eq_u64_e64 v[39:40], v[10:11]
	s_cbranch_execz .LBB19_56
; %bb.58:                               ;   in Loop: Header=BB19_57 Depth=3
	v_add_nc_u32_e32 v39, v18, v14
	v_lshlrev_b64_e32 v[15:16], 2, v[16:17]
	s_delay_alu instid0(VALU_DEP_2) | instskip(NEXT) | instid1(VALU_DEP_1)
	v_ashrrev_i32_e32 v40, 31, v39
	v_lshlrev_b64_e32 v[39:40], 2, v[39:40]
	s_delay_alu instid0(VALU_DEP_1) | instskip(SKIP_1) | instid1(VALU_DEP_2)
	v_add_co_u32 v39, s3, s24, v39
	s_wait_alu 0xf1ff
	v_add_co_ci_u32_e64 v40, null, s25, v40, s3
	v_add_co_u32 v15, s3, v37, v15
	s_wait_alu 0xf1ff
	v_add_co_ci_u32_e64 v16, null, v38, v16, s3
	global_load_b32 v13, v[39:40], off
	s_wait_loadcnt 0x0
	global_store_b32 v[15:16], v13, off
	s_branch .LBB19_56
.LBB19_59:
	s_endpgm
.LBB19_60:
                                        ; implicit-def: $sgpr26_sgpr27
	s_branch .LBB19_5
.LBB19_61:
                                        ; implicit-def: $sgpr34_sgpr35
	s_branch .LBB19_8
	.section	.rodata,"a",@progbits
	.p2align	6, 0x0
	.amdhsa_kernel _ZN2at6native12_GLOBAL__N_122max_pool_backward_nhwcIffEEvPKT_PKlillliiiiiiiiiiiiiiiPS3_
		.amdhsa_group_segment_fixed_size 0
		.amdhsa_private_segment_fixed_size 0
		.amdhsa_kernarg_size 376
		.amdhsa_user_sgpr_count 2
		.amdhsa_user_sgpr_dispatch_ptr 0
		.amdhsa_user_sgpr_queue_ptr 0
		.amdhsa_user_sgpr_kernarg_segment_ptr 1
		.amdhsa_user_sgpr_dispatch_id 0
		.amdhsa_user_sgpr_private_segment_size 0
		.amdhsa_wavefront_size32 1
		.amdhsa_uses_dynamic_stack 0
		.amdhsa_enable_private_segment 0
		.amdhsa_system_sgpr_workgroup_id_x 1
		.amdhsa_system_sgpr_workgroup_id_y 1
		.amdhsa_system_sgpr_workgroup_id_z 1
		.amdhsa_system_sgpr_workgroup_info 0
		.amdhsa_system_vgpr_workitem_id 2
		.amdhsa_next_free_vgpr 46
		.amdhsa_next_free_sgpr 52
		.amdhsa_reserve_vcc 1
		.amdhsa_float_round_mode_32 0
		.amdhsa_float_round_mode_16_64 0
		.amdhsa_float_denorm_mode_32 3
		.amdhsa_float_denorm_mode_16_64 3
		.amdhsa_fp16_overflow 0
		.amdhsa_workgroup_processor_mode 1
		.amdhsa_memory_ordered 1
		.amdhsa_forward_progress 1
		.amdhsa_inst_pref_size 41
		.amdhsa_round_robin_scheduling 0
		.amdhsa_exception_fp_ieee_invalid_op 0
		.amdhsa_exception_fp_denorm_src 0
		.amdhsa_exception_fp_ieee_div_zero 0
		.amdhsa_exception_fp_ieee_overflow 0
		.amdhsa_exception_fp_ieee_underflow 0
		.amdhsa_exception_fp_ieee_inexact 0
		.amdhsa_exception_int_div_zero 0
	.end_amdhsa_kernel
	.section	.text._ZN2at6native12_GLOBAL__N_122max_pool_backward_nhwcIffEEvPKT_PKlillliiiiiiiiiiiiiiiPS3_,"axG",@progbits,_ZN2at6native12_GLOBAL__N_122max_pool_backward_nhwcIffEEvPKT_PKlillliiiiiiiiiiiiiiiPS3_,comdat
.Lfunc_end19:
	.size	_ZN2at6native12_GLOBAL__N_122max_pool_backward_nhwcIffEEvPKT_PKlillliiiiiiiiiiiiiiiPS3_, .Lfunc_end19-_ZN2at6native12_GLOBAL__N_122max_pool_backward_nhwcIffEEvPKT_PKlillliiiiiiiiiiiiiiiPS3_
                                        ; -- End function
	.set _ZN2at6native12_GLOBAL__N_122max_pool_backward_nhwcIffEEvPKT_PKlillliiiiiiiiiiiiiiiPS3_.num_vgpr, 46
	.set _ZN2at6native12_GLOBAL__N_122max_pool_backward_nhwcIffEEvPKT_PKlillliiiiiiiiiiiiiiiPS3_.num_agpr, 0
	.set _ZN2at6native12_GLOBAL__N_122max_pool_backward_nhwcIffEEvPKT_PKlillliiiiiiiiiiiiiiiPS3_.numbered_sgpr, 52
	.set _ZN2at6native12_GLOBAL__N_122max_pool_backward_nhwcIffEEvPKT_PKlillliiiiiiiiiiiiiiiPS3_.num_named_barrier, 0
	.set _ZN2at6native12_GLOBAL__N_122max_pool_backward_nhwcIffEEvPKT_PKlillliiiiiiiiiiiiiiiPS3_.private_seg_size, 0
	.set _ZN2at6native12_GLOBAL__N_122max_pool_backward_nhwcIffEEvPKT_PKlillliiiiiiiiiiiiiiiPS3_.uses_vcc, 1
	.set _ZN2at6native12_GLOBAL__N_122max_pool_backward_nhwcIffEEvPKT_PKlillliiiiiiiiiiiiiiiPS3_.uses_flat_scratch, 0
	.set _ZN2at6native12_GLOBAL__N_122max_pool_backward_nhwcIffEEvPKT_PKlillliiiiiiiiiiiiiiiPS3_.has_dyn_sized_stack, 0
	.set _ZN2at6native12_GLOBAL__N_122max_pool_backward_nhwcIffEEvPKT_PKlillliiiiiiiiiiiiiiiPS3_.has_recursion, 0
	.set _ZN2at6native12_GLOBAL__N_122max_pool_backward_nhwcIffEEvPKT_PKlillliiiiiiiiiiiiiiiPS3_.has_indirect_call, 0
	.section	.AMDGPU.csdata,"",@progbits
; Kernel info:
; codeLenInByte = 5160
; TotalNumSgprs: 54
; NumVgprs: 46
; ScratchSize: 0
; MemoryBound: 0
; FloatMode: 240
; IeeeMode: 1
; LDSByteSize: 0 bytes/workgroup (compile time only)
; SGPRBlocks: 0
; VGPRBlocks: 5
; NumSGPRsForWavesPerEU: 54
; NumVGPRsForWavesPerEU: 46
; Occupancy: 16
; WaveLimiterHint : 0
; COMPUTE_PGM_RSRC2:SCRATCH_EN: 0
; COMPUTE_PGM_RSRC2:USER_SGPR: 2
; COMPUTE_PGM_RSRC2:TRAP_HANDLER: 0
; COMPUTE_PGM_RSRC2:TGID_X_EN: 1
; COMPUTE_PGM_RSRC2:TGID_Y_EN: 1
; COMPUTE_PGM_RSRC2:TGID_Z_EN: 1
; COMPUTE_PGM_RSRC2:TIDIG_COMP_CNT: 2
	.section	.text._ZN2at6native12_GLOBAL__N_122max_pool_backward_nchwIffiEEvPKT_PKlT1_S8_S8_S8_S8_S8_iiiiiiiiPS3_,"axG",@progbits,_ZN2at6native12_GLOBAL__N_122max_pool_backward_nchwIffiEEvPKT_PKlT1_S8_S8_S8_S8_S8_iiiiiiiiPS3_,comdat
	.globl	_ZN2at6native12_GLOBAL__N_122max_pool_backward_nchwIffiEEvPKT_PKlT1_S8_S8_S8_S8_S8_iiiiiiiiPS3_ ; -- Begin function _ZN2at6native12_GLOBAL__N_122max_pool_backward_nchwIffiEEvPKT_PKlT1_S8_S8_S8_S8_S8_iiiiiiiiPS3_
	.p2align	8
	.type	_ZN2at6native12_GLOBAL__N_122max_pool_backward_nchwIffiEEvPKT_PKlT1_S8_S8_S8_S8_S8_iiiiiiiiPS3_,@function
_ZN2at6native12_GLOBAL__N_122max_pool_backward_nchwIffiEEvPKT_PKlT1_S8_S8_S8_S8_S8_iiiiiiiiPS3_: ; @_ZN2at6native12_GLOBAL__N_122max_pool_backward_nchwIffiEEvPKT_PKlT1_S8_S8_S8_S8_S8_iiiiiiiiPS3_
; %bb.0:
	s_clause 0x1
	s_load_b32 s2, s[0:1], 0x5c
	s_load_b256 s[4:11], s[0:1], 0x10
	v_mov_b32_e32 v1, 0
	s_wait_kmcnt 0x0
	s_and_b32 s35, s2, 0xffff
	s_mul_i32 s2, s7, s6
	s_delay_alu instid0(VALU_DEP_1)
	v_mad_co_u64_u32 v[0:1], null, s35, ttmp9, v[0:1]
	s_ashr_i32 s3, s2, 31
	s_mov_b32 s6, exec_lo
	v_cmpx_gt_i64_e64 s[2:3], v[0:1]
	s_cbranch_execz .LBB20_23
; %bb.1:
	s_load_b256 s[12:19], s[0:1], 0x30
	s_add_co_i32 s10, s10, -1
	s_add_co_i32 s11, s11, -1
	s_and_b32 s6, ttmp7, 0xffff
	s_wait_kmcnt 0x0
	s_add_nc_u64 s[18:19], s[0:1], 0x50
	s_load_b128 s[20:23], s[0:1], 0x0
	s_load_b32 s36, s[18:19], 0x0
	s_mul_i32 s38, s6, s5
	s_mul_i32 s29, s9, s8
	s_mov_b32 s28, 0
	s_mul_i32 s16, s16, s10
	s_mul_i32 s17, s17, s11
	s_not_b32 s24, s16
	s_not_b32 s25, s17
	s_cmp_lt_i32 s6, s4
	s_load_b64 s[10:11], s[0:1], 0x48
	s_cselect_b32 s26, -1, 0
	s_lshr_b32 s27, ttmp7, 16
	s_wait_kmcnt 0x0
	s_mul_i32 s35, s36, s35
	s_cmp_lt_i32 s27, s5
	s_cselect_b32 s30, -1, 0
	s_abs_i32 s31, s7
	s_abs_i32 s33, s12
	s_abs_i32 s34, s13
	s_cvt_f32_u32 s0, s31
	s_cvt_f32_u32 s1, s33
	s_wait_alu 0xfffe
	s_cvt_f32_u32 s37, s34
	s_sub_co_i32 s39, 0, s31
	v_rcp_iflag_f32_e32 v2, s0
	v_rcp_iflag_f32_e32 v3, s1
	;; [unrolled: 1-line block ×3, first 2 shown]
	s_add_co_i32 s0, s27, s38
	s_sub_co_i32 s40, 0, s33
	s_sub_co_i32 s41, 0, s34
	s_ashr_i32 s36, s7, 31
	s_ashr_i32 s12, s12, 31
	;; [unrolled: 1-line block ×3, first 2 shown]
	s_delay_alu instid0(TRANS32_DEP_3) | instskip(NEXT) | instid1(TRANS32_DEP_2)
	v_readfirstlane_b32 s1, v2
	v_readfirstlane_b32 s37, v3
	s_delay_alu instid0(TRANS32_DEP_1)
	v_readfirstlane_b32 s38, v4
	s_mul_f32 s1, s1, 0x4f7ffffe
	s_mul_f32 s37, s37, 0x4f7ffffe
	;; [unrolled: 1-line block ×3, first 2 shown]
	s_wait_alu 0xfffe
	s_cvt_u32_f32 s1, s1
	s_cvt_u32_f32 s42, s37
	;; [unrolled: 1-line block ×3, first 2 shown]
	s_mul_i32 s37, s8, s0
	s_wait_alu 0xfffe
	s_mul_i32 s39, s39, s1
	s_mul_i32 s40, s40, s42
	;; [unrolled: 1-line block ×3, first 2 shown]
	s_mul_hi_u32 s0, s1, s39
	s_mul_hi_u32 s39, s42, s40
	;; [unrolled: 1-line block ×3, first 2 shown]
	s_wait_alu 0xfffe
	s_add_co_i32 s38, s1, s0
	s_add_co_i32 s39, s42, s39
	;; [unrolled: 1-line block ×3, first 2 shown]
	s_mul_i32 s41, s29, s5
	s_branch .LBB20_3
.LBB20_2:                               ;   in Loop: Header=BB20_3 Depth=1
	v_add_co_u32 v0, vcc_lo, v0, s35
	s_wait_alu 0xfffd
	v_add_co_ci_u32_e64 v1, null, 0, v1, vcc_lo
	s_delay_alu instid0(VALU_DEP_1) | instskip(SKIP_1) | instid1(SALU_CYCLE_1)
	v_cmp_le_i64_e32 vcc_lo, s[2:3], v[0:1]
	s_or_b32 s28, vcc_lo, s28
	s_and_not1_b32 exec_lo, exec_lo, s28
	s_cbranch_execz .LBB20_23
.LBB20_3:                               ; =>This Loop Header: Depth=1
                                        ;     Child Loop BB20_10 Depth 2
                                        ;       Child Loop BB20_14 Depth 3
                                        ;         Child Loop BB20_18 Depth 4
                                        ;           Child Loop BB20_21 Depth 5
	v_sub_nc_u32_e32 v2, 0, v0
	v_mov_b32_e32 v6, 0
	s_mov_b32 s0, exec_lo
	s_delay_alu instid0(VALU_DEP_2) | instskip(NEXT) | instid1(VALU_DEP_1)
	v_max_i32_e32 v2, v0, v2
	v_mul_hi_u32 v3, v2, s38
	s_delay_alu instid0(VALU_DEP_1) | instskip(NEXT) | instid1(VALU_DEP_1)
	v_mul_lo_u32 v4, v3, s31
	v_sub_nc_u32_e32 v2, v2, v4
	v_add_nc_u32_e32 v4, 1, v3
	s_delay_alu instid0(VALU_DEP_2) | instskip(SKIP_2) | instid1(VALU_DEP_2)
	v_subrev_nc_u32_e32 v5, s31, v2
	v_cmp_le_u32_e32 vcc_lo, s31, v2
	s_wait_alu 0xfffd
	v_dual_cndmask_b32 v3, v3, v4 :: v_dual_cndmask_b32 v2, v2, v5
	v_ashrrev_i32_e32 v4, 31, v0
	s_delay_alu instid0(VALU_DEP_2) | instskip(NEXT) | instid1(VALU_DEP_3)
	v_add_nc_u32_e32 v5, 1, v3
	v_cmp_le_u32_e32 vcc_lo, s31, v2
	s_delay_alu instid0(VALU_DEP_3) | instskip(SKIP_1) | instid1(VALU_DEP_3)
	v_xor_b32_e32 v4, s36, v4
	s_wait_alu 0xfffd
	v_cndmask_b32_e32 v2, v3, v5, vcc_lo
	s_delay_alu instid0(VALU_DEP_1) | instskip(NEXT) | instid1(VALU_DEP_1)
	v_xor_b32_e32 v2, v2, v4
	v_sub_nc_u32_e32 v4, v2, v4
	s_delay_alu instid0(VALU_DEP_1) | instskip(NEXT) | instid1(VALU_DEP_1)
	v_dual_mov_b32 v2, 0 :: v_dual_add_nc_u32 v3, s14, v4
	v_cmpx_lt_i32_e64 s16, v3
	s_cbranch_execz .LBB20_5
; %bb.4:                                ;   in Loop: Header=BB20_3 Depth=1
	v_add_nc_u32_e32 v5, s24, v3
	s_delay_alu instid0(VALU_DEP_1) | instskip(NEXT) | instid1(VALU_DEP_1)
	v_sub_nc_u32_e32 v6, 0, v5
	v_max_i32_e32 v6, v5, v6
	s_delay_alu instid0(VALU_DEP_1) | instskip(NEXT) | instid1(VALU_DEP_1)
	v_mul_hi_u32 v7, v6, s39
	v_mul_lo_u32 v8, v7, s33
	s_delay_alu instid0(VALU_DEP_1) | instskip(SKIP_1) | instid1(VALU_DEP_2)
	v_sub_nc_u32_e32 v6, v6, v8
	v_add_nc_u32_e32 v8, 1, v7
	v_subrev_nc_u32_e32 v9, s33, v6
	v_cmp_le_u32_e32 vcc_lo, s33, v6
	s_wait_alu 0xfffd
	s_delay_alu instid0(VALU_DEP_2) | instskip(SKIP_1) | instid1(VALU_DEP_2)
	v_dual_cndmask_b32 v7, v7, v8 :: v_dual_cndmask_b32 v6, v6, v9
	v_ashrrev_i32_e32 v5, 31, v5
	v_add_nc_u32_e32 v8, 1, v7
	s_delay_alu instid0(VALU_DEP_3) | instskip(NEXT) | instid1(VALU_DEP_3)
	v_cmp_le_u32_e32 vcc_lo, s33, v6
	v_xor_b32_e32 v5, s12, v5
	s_wait_alu 0xfffd
	s_delay_alu instid0(VALU_DEP_3) | instskip(NEXT) | instid1(VALU_DEP_1)
	v_cndmask_b32_e32 v6, v7, v8, vcc_lo
	v_xor_b32_e32 v6, v6, v5
	s_delay_alu instid0(VALU_DEP_1) | instskip(NEXT) | instid1(VALU_DEP_1)
	v_sub_nc_u32_e32 v5, v6, v5
	v_add_nc_u32_e32 v6, 1, v5
.LBB20_5:                               ;   in Loop: Header=BB20_3 Depth=1
	s_wait_alu 0xfffe
	s_or_b32 exec_lo, exec_lo, s0
	v_mul_lo_u32 v4, v4, s7
	s_mov_b32 s0, exec_lo
	s_delay_alu instid0(VALU_DEP_1) | instskip(NEXT) | instid1(VALU_DEP_1)
	v_sub_nc_u32_e32 v4, v0, v4
	v_add_nc_u32_e32 v4, s15, v4
	s_delay_alu instid0(VALU_DEP_1)
	v_cmpx_lt_i32_e64 s17, v4
	s_cbranch_execz .LBB20_7
; %bb.6:                                ;   in Loop: Header=BB20_3 Depth=1
	v_add_nc_u32_e32 v2, s25, v4
	s_delay_alu instid0(VALU_DEP_1) | instskip(NEXT) | instid1(VALU_DEP_1)
	v_sub_nc_u32_e32 v5, 0, v2
	v_max_i32_e32 v5, v2, v5
	s_delay_alu instid0(VALU_DEP_1) | instskip(NEXT) | instid1(VALU_DEP_1)
	v_mul_hi_u32 v7, v5, s40
	v_mul_lo_u32 v8, v7, s34
	s_delay_alu instid0(VALU_DEP_1) | instskip(SKIP_1) | instid1(VALU_DEP_2)
	v_sub_nc_u32_e32 v5, v5, v8
	v_add_nc_u32_e32 v8, 1, v7
	v_subrev_nc_u32_e32 v9, s34, v5
	v_cmp_le_u32_e32 vcc_lo, s34, v5
	s_wait_alu 0xfffd
	s_delay_alu instid0(VALU_DEP_3) | instskip(NEXT) | instid1(VALU_DEP_3)
	v_cndmask_b32_e32 v7, v7, v8, vcc_lo
	v_cndmask_b32_e32 v5, v5, v9, vcc_lo
	v_ashrrev_i32_e32 v2, 31, v2
	s_delay_alu instid0(VALU_DEP_3) | instskip(NEXT) | instid1(VALU_DEP_3)
	v_add_nc_u32_e32 v8, 1, v7
	v_cmp_le_u32_e32 vcc_lo, s34, v5
	s_delay_alu instid0(VALU_DEP_3) | instskip(SKIP_1) | instid1(VALU_DEP_3)
	v_xor_b32_e32 v2, s13, v2
	s_wait_alu 0xfffd
	v_cndmask_b32_e32 v5, v7, v8, vcc_lo
	s_delay_alu instid0(VALU_DEP_1) | instskip(NEXT) | instid1(VALU_DEP_1)
	v_xor_b32_e32 v5, v5, v2
	v_sub_nc_u32_e32 v2, v5, v2
	s_delay_alu instid0(VALU_DEP_1)
	v_add_nc_u32_e32 v2, 1, v2
.LBB20_7:                               ;   in Loop: Header=BB20_3 Depth=1
	s_wait_alu 0xfffe
	s_or_b32 exec_lo, exec_lo, s0
	s_delay_alu instid0(SALU_CYCLE_1)
	s_and_not1_b32 vcc_lo, exec_lo, s26
	s_wait_alu 0xfffe
	s_cbranch_vccnz .LBB20_2
; %bb.8:                                ;   in Loop: Header=BB20_3 Depth=1
	v_sub_nc_u32_e32 v5, 0, v4
	v_sub_nc_u32_e32 v7, 0, v3
	s_load_b32 s42, s[18:19], 0x4
	s_mov_b32 s44, s6
	s_delay_alu instid0(VALU_DEP_2) | instskip(NEXT) | instid1(VALU_DEP_2)
	v_max_i32_e32 v5, v4, v5
	v_max_i32_e32 v7, v3, v7
	v_ashrrev_i32_e32 v4, 31, v4
	v_ashrrev_i32_e32 v3, 31, v3
	s_delay_alu instid0(VALU_DEP_4) | instskip(NEXT) | instid1(VALU_DEP_4)
	v_mul_hi_u32 v8, v5, s40
	v_mul_hi_u32 v9, v7, s39
	s_delay_alu instid0(VALU_DEP_4) | instskip(NEXT) | instid1(VALU_DEP_4)
	v_xor_b32_e32 v4, s13, v4
	v_xor_b32_e32 v3, s12, v3
	s_delay_alu instid0(VALU_DEP_4) | instskip(NEXT) | instid1(VALU_DEP_4)
	v_mul_lo_u32 v10, v8, s34
	v_mul_lo_u32 v11, v9, s33
	s_wait_kmcnt 0x0
	s_mul_i32 s43, s41, s42
	s_delay_alu instid0(VALU_DEP_2) | instskip(NEXT) | instid1(VALU_DEP_2)
	v_sub_nc_u32_e32 v5, v5, v10
	v_sub_nc_u32_e32 v7, v7, v11
	v_add_nc_u32_e32 v11, 1, v8
	s_delay_alu instid0(VALU_DEP_3) | instskip(NEXT) | instid1(VALU_DEP_3)
	v_cmp_le_u32_e64 s0, s34, v5
	v_subrev_nc_u32_e32 v13, s33, v7
	v_cmp_le_u32_e32 vcc_lo, s33, v7
	v_subrev_nc_u32_e32 v12, s34, v5
	s_wait_alu 0xf1ff
	v_cndmask_b32_e64 v8, v8, v11, s0
	s_wait_alu 0xfffd
	v_cndmask_b32_e32 v7, v7, v13, vcc_lo
	v_cndmask_b32_e64 v5, v5, v12, s0
	s_delay_alu instid0(VALU_DEP_3) | instskip(SKIP_1) | instid1(VALU_DEP_1)
	v_add_nc_u32_e32 v11, 1, v8
	v_add_nc_u32_e32 v10, 1, v9
	v_cndmask_b32_e32 v9, v9, v10, vcc_lo
	v_cmp_le_u32_e32 vcc_lo, s33, v7
	s_delay_alu instid0(VALU_DEP_2) | instskip(SKIP_1) | instid1(VALU_DEP_1)
	v_add_nc_u32_e32 v10, 1, v9
	s_wait_alu 0xfffd
	v_cndmask_b32_e32 v7, v9, v10, vcc_lo
	v_cmp_le_u32_e32 vcc_lo, s34, v5
	s_delay_alu instid0(VALU_DEP_2) | instskip(SKIP_2) | instid1(VALU_DEP_2)
	v_xor_b32_e32 v7, v7, v3
	s_wait_alu 0xfffd
	v_cndmask_b32_e32 v5, v8, v11, vcc_lo
	v_sub_nc_u32_e32 v3, v7, v3
	s_delay_alu instid0(VALU_DEP_2) | instskip(NEXT) | instid1(VALU_DEP_2)
	v_xor_b32_e32 v5, v5, v4
	v_add_nc_u32_e32 v3, 1, v3
	s_delay_alu instid0(VALU_DEP_2) | instskip(SKIP_1) | instid1(VALU_DEP_3)
	v_sub_nc_u32_e32 v4, v5, v4
	v_add_nc_u32_e32 v5, s37, v6
	v_min_i32_e32 v7, s8, v3
	s_delay_alu instid0(VALU_DEP_3) | instskip(NEXT) | instid1(VALU_DEP_2)
	v_add_nc_u32_e32 v4, 1, v4
	v_cmp_lt_i32_e64 s0, v6, v7
	s_delay_alu instid0(VALU_DEP_2) | instskip(SKIP_1) | instid1(VALU_DEP_2)
	v_min_i32_e32 v8, s9, v4
	v_mad_co_u64_u32 v[3:4], null, s9, v5, v[2:3]
	v_cmp_lt_i32_e64 s1, v2, v8
	s_branch .LBB20_10
.LBB20_9:                               ;   in Loop: Header=BB20_10 Depth=2
	s_delay_alu instid0(VALU_DEP_1) | instskip(SKIP_1) | instid1(SALU_CYCLE_1)
	v_add_nc_u32_e32 v3, s43, v3
	s_add_co_i32 s44, s42, s44
	s_cmp_ge_i32 s44, s4
	s_cbranch_scc1 .LBB20_2
.LBB20_10:                              ;   Parent Loop BB20_3 Depth=1
                                        ; =>  This Loop Header: Depth=2
                                        ;       Child Loop BB20_14 Depth 3
                                        ;         Child Loop BB20_18 Depth 4
                                        ;           Child Loop BB20_21 Depth 5
	s_and_not1_b32 vcc_lo, exec_lo, s30
	s_wait_alu 0xfffe
	s_cbranch_vccnz .LBB20_9
; %bb.11:                               ;   in Loop: Header=BB20_10 Depth=2
	s_load_b32 s45, s[18:19], 0x8
	s_delay_alu instid0(VALU_DEP_1)
	v_mov_b32_e32 v9, v3
	s_mul_i32 s46, s44, s5
	s_mov_b32 s48, s27
	s_wait_kmcnt 0x0
	s_mul_i32 s47, s29, s45
	s_branch .LBB20_14
.LBB20_12:                              ;   in Loop: Header=BB20_14 Depth=3
	s_or_b32 exec_lo, exec_lo, s50
.LBB20_13:                              ;   in Loop: Header=BB20_14 Depth=3
	s_wait_alu 0xfffe
	s_or_b32 exec_lo, exec_lo, s49
	s_add_co_i32 s49, s48, s46
	v_add_nc_u32_e32 v9, s47, v9
	s_wait_alu 0xfffe
	v_mad_co_u64_u32 v[4:5], null, s2, s49, v[0:1]
	s_add_co_i32 s48, s45, s48
	s_wait_alu 0xfffe
	s_cmp_ge_i32 s48, s5
	v_ashrrev_i32_e32 v5, 31, v4
	s_delay_alu instid0(VALU_DEP_1) | instskip(NEXT) | instid1(VALU_DEP_1)
	v_lshlrev_b64_e32 v[4:5], 2, v[4:5]
	v_add_co_u32 v4, vcc_lo, s10, v4
	s_wait_alu 0xfffd
	s_delay_alu instid0(VALU_DEP_2)
	v_add_co_ci_u32_e64 v5, null, s11, v5, vcc_lo
	global_store_b32 v[4:5], v10, off
	s_cbranch_scc1 .LBB20_9
.LBB20_14:                              ;   Parent Loop BB20_3 Depth=1
                                        ;     Parent Loop BB20_10 Depth=2
                                        ; =>    This Loop Header: Depth=3
                                        ;         Child Loop BB20_18 Depth 4
                                        ;           Child Loop BB20_21 Depth 5
	v_mov_b32_e32 v10, 0
	s_and_saveexec_b32 s49, s0
	s_cbranch_execz .LBB20_13
; %bb.15:                               ;   in Loop: Header=BB20_14 Depth=3
	v_dual_mov_b32 v10, 0 :: v_dual_mov_b32 v11, v9
	v_mov_b32_e32 v12, v6
	s_mov_b32 s50, 0
	s_branch .LBB20_18
.LBB20_16:                              ;   in Loop: Header=BB20_18 Depth=4
	s_or_b32 exec_lo, exec_lo, s52
.LBB20_17:                              ;   in Loop: Header=BB20_18 Depth=4
	s_delay_alu instid0(SALU_CYCLE_1) | instskip(SKIP_2) | instid1(VALU_DEP_2)
	s_or_b32 exec_lo, exec_lo, s51
	v_add_nc_u32_e32 v12, 1, v12
	v_add_nc_u32_e32 v11, s9, v11
	v_cmp_ge_i32_e32 vcc_lo, v12, v7
	s_or_b32 s50, vcc_lo, s50
	s_delay_alu instid0(SALU_CYCLE_1)
	s_and_not1_b32 exec_lo, exec_lo, s50
	s_cbranch_execz .LBB20_12
.LBB20_18:                              ;   Parent Loop BB20_3 Depth=1
                                        ;     Parent Loop BB20_10 Depth=2
                                        ;       Parent Loop BB20_14 Depth=3
                                        ; =>      This Loop Header: Depth=4
                                        ;           Child Loop BB20_21 Depth 5
	s_and_saveexec_b32 s51, s1
	s_cbranch_execz .LBB20_17
; %bb.19:                               ;   in Loop: Header=BB20_18 Depth=4
	v_dual_mov_b32 v4, v11 :: v_dual_mov_b32 v13, v2
	s_mov_b32 s52, 0
	s_branch .LBB20_21
.LBB20_20:                              ;   in Loop: Header=BB20_21 Depth=5
	s_or_b32 exec_lo, exec_lo, s53
	v_add_nc_u32_e32 v13, 1, v13
	v_add_nc_u32_e32 v4, 1, v4
	s_delay_alu instid0(VALU_DEP_2) | instskip(SKIP_1) | instid1(SALU_CYCLE_1)
	v_cmp_ge_i32_e32 vcc_lo, v13, v8
	s_or_b32 s52, vcc_lo, s52
	s_and_not1_b32 exec_lo, exec_lo, s52
	s_cbranch_execz .LBB20_16
.LBB20_21:                              ;   Parent Loop BB20_3 Depth=1
                                        ;     Parent Loop BB20_10 Depth=2
                                        ;       Parent Loop BB20_14 Depth=3
                                        ;         Parent Loop BB20_18 Depth=4
                                        ; =>        This Inner Loop Header: Depth=5
	s_delay_alu instid0(VALU_DEP_1) | instskip(SKIP_1) | instid1(VALU_DEP_1)
	v_ashrrev_i32_e32 v5, 31, v4
	s_mov_b32 s53, exec_lo
	v_lshlrev_b64_e32 v[14:15], 3, v[4:5]
	s_delay_alu instid0(VALU_DEP_1) | instskip(SKIP_1) | instid1(VALU_DEP_2)
	v_add_co_u32 v14, vcc_lo, s22, v14
	s_wait_alu 0xfffd
	v_add_co_ci_u32_e64 v15, null, s23, v15, vcc_lo
	global_load_b64 v[14:15], v[14:15], off
	s_wait_loadcnt 0x0
	v_cmpx_eq_u64_e64 v[14:15], v[0:1]
	s_cbranch_execz .LBB20_20
; %bb.22:                               ;   in Loop: Header=BB20_21 Depth=5
	v_lshlrev_b64_e32 v[14:15], 2, v[4:5]
	s_delay_alu instid0(VALU_DEP_1) | instskip(SKIP_1) | instid1(VALU_DEP_2)
	v_add_co_u32 v14, vcc_lo, s20, v14
	s_wait_alu 0xfffd
	v_add_co_ci_u32_e64 v15, null, s21, v15, vcc_lo
	global_load_b32 v5, v[14:15], off
	s_wait_loadcnt 0x0
	v_add_f32_e32 v10, v10, v5
	s_branch .LBB20_20
.LBB20_23:
	s_endpgm
	.section	.rodata,"a",@progbits
	.p2align	6, 0x0
	.amdhsa_kernel _ZN2at6native12_GLOBAL__N_122max_pool_backward_nchwIffiEEvPKT_PKlT1_S8_S8_S8_S8_S8_iiiiiiiiPS3_
		.amdhsa_group_segment_fixed_size 0
		.amdhsa_private_segment_fixed_size 0
		.amdhsa_kernarg_size 336
		.amdhsa_user_sgpr_count 2
		.amdhsa_user_sgpr_dispatch_ptr 0
		.amdhsa_user_sgpr_queue_ptr 0
		.amdhsa_user_sgpr_kernarg_segment_ptr 1
		.amdhsa_user_sgpr_dispatch_id 0
		.amdhsa_user_sgpr_private_segment_size 0
		.amdhsa_wavefront_size32 1
		.amdhsa_uses_dynamic_stack 0
		.amdhsa_enable_private_segment 0
		.amdhsa_system_sgpr_workgroup_id_x 1
		.amdhsa_system_sgpr_workgroup_id_y 1
		.amdhsa_system_sgpr_workgroup_id_z 1
		.amdhsa_system_sgpr_workgroup_info 0
		.amdhsa_system_vgpr_workitem_id 0
		.amdhsa_next_free_vgpr 16
		.amdhsa_next_free_sgpr 54
		.amdhsa_reserve_vcc 1
		.amdhsa_float_round_mode_32 0
		.amdhsa_float_round_mode_16_64 0
		.amdhsa_float_denorm_mode_32 3
		.amdhsa_float_denorm_mode_16_64 3
		.amdhsa_fp16_overflow 0
		.amdhsa_workgroup_processor_mode 1
		.amdhsa_memory_ordered 1
		.amdhsa_forward_progress 1
		.amdhsa_inst_pref_size 13
		.amdhsa_round_robin_scheduling 0
		.amdhsa_exception_fp_ieee_invalid_op 0
		.amdhsa_exception_fp_denorm_src 0
		.amdhsa_exception_fp_ieee_div_zero 0
		.amdhsa_exception_fp_ieee_overflow 0
		.amdhsa_exception_fp_ieee_underflow 0
		.amdhsa_exception_fp_ieee_inexact 0
		.amdhsa_exception_int_div_zero 0
	.end_amdhsa_kernel
	.section	.text._ZN2at6native12_GLOBAL__N_122max_pool_backward_nchwIffiEEvPKT_PKlT1_S8_S8_S8_S8_S8_iiiiiiiiPS3_,"axG",@progbits,_ZN2at6native12_GLOBAL__N_122max_pool_backward_nchwIffiEEvPKT_PKlT1_S8_S8_S8_S8_S8_iiiiiiiiPS3_,comdat
.Lfunc_end20:
	.size	_ZN2at6native12_GLOBAL__N_122max_pool_backward_nchwIffiEEvPKT_PKlT1_S8_S8_S8_S8_S8_iiiiiiiiPS3_, .Lfunc_end20-_ZN2at6native12_GLOBAL__N_122max_pool_backward_nchwIffiEEvPKT_PKlT1_S8_S8_S8_S8_S8_iiiiiiiiPS3_
                                        ; -- End function
	.set _ZN2at6native12_GLOBAL__N_122max_pool_backward_nchwIffiEEvPKT_PKlT1_S8_S8_S8_S8_S8_iiiiiiiiPS3_.num_vgpr, 16
	.set _ZN2at6native12_GLOBAL__N_122max_pool_backward_nchwIffiEEvPKT_PKlT1_S8_S8_S8_S8_S8_iiiiiiiiPS3_.num_agpr, 0
	.set _ZN2at6native12_GLOBAL__N_122max_pool_backward_nchwIffiEEvPKT_PKlT1_S8_S8_S8_S8_S8_iiiiiiiiPS3_.numbered_sgpr, 54
	.set _ZN2at6native12_GLOBAL__N_122max_pool_backward_nchwIffiEEvPKT_PKlT1_S8_S8_S8_S8_S8_iiiiiiiiPS3_.num_named_barrier, 0
	.set _ZN2at6native12_GLOBAL__N_122max_pool_backward_nchwIffiEEvPKT_PKlT1_S8_S8_S8_S8_S8_iiiiiiiiPS3_.private_seg_size, 0
	.set _ZN2at6native12_GLOBAL__N_122max_pool_backward_nchwIffiEEvPKT_PKlT1_S8_S8_S8_S8_S8_iiiiiiiiPS3_.uses_vcc, 1
	.set _ZN2at6native12_GLOBAL__N_122max_pool_backward_nchwIffiEEvPKT_PKlT1_S8_S8_S8_S8_S8_iiiiiiiiPS3_.uses_flat_scratch, 0
	.set _ZN2at6native12_GLOBAL__N_122max_pool_backward_nchwIffiEEvPKT_PKlT1_S8_S8_S8_S8_S8_iiiiiiiiPS3_.has_dyn_sized_stack, 0
	.set _ZN2at6native12_GLOBAL__N_122max_pool_backward_nchwIffiEEvPKT_PKlT1_S8_S8_S8_S8_S8_iiiiiiiiPS3_.has_recursion, 0
	.set _ZN2at6native12_GLOBAL__N_122max_pool_backward_nchwIffiEEvPKT_PKlT1_S8_S8_S8_S8_S8_iiiiiiiiPS3_.has_indirect_call, 0
	.section	.AMDGPU.csdata,"",@progbits
; Kernel info:
; codeLenInByte = 1584
; TotalNumSgprs: 56
; NumVgprs: 16
; ScratchSize: 0
; MemoryBound: 0
; FloatMode: 240
; IeeeMode: 1
; LDSByteSize: 0 bytes/workgroup (compile time only)
; SGPRBlocks: 0
; VGPRBlocks: 1
; NumSGPRsForWavesPerEU: 56
; NumVGPRsForWavesPerEU: 16
; Occupancy: 16
; WaveLimiterHint : 0
; COMPUTE_PGM_RSRC2:SCRATCH_EN: 0
; COMPUTE_PGM_RSRC2:USER_SGPR: 2
; COMPUTE_PGM_RSRC2:TRAP_HANDLER: 0
; COMPUTE_PGM_RSRC2:TGID_X_EN: 1
; COMPUTE_PGM_RSRC2:TGID_Y_EN: 1
; COMPUTE_PGM_RSRC2:TGID_Z_EN: 1
; COMPUTE_PGM_RSRC2:TIDIG_COMP_CNT: 0
	.section	.text._ZN2at6native12_GLOBAL__N_122max_pool_backward_nchwIfflEEvPKT_PKlT1_S8_S8_S8_S8_S8_iiiiiiiiPS3_,"axG",@progbits,_ZN2at6native12_GLOBAL__N_122max_pool_backward_nchwIfflEEvPKT_PKlT1_S8_S8_S8_S8_S8_iiiiiiiiPS3_,comdat
	.globl	_ZN2at6native12_GLOBAL__N_122max_pool_backward_nchwIfflEEvPKT_PKlT1_S8_S8_S8_S8_S8_iiiiiiiiPS3_ ; -- Begin function _ZN2at6native12_GLOBAL__N_122max_pool_backward_nchwIfflEEvPKT_PKlT1_S8_S8_S8_S8_S8_iiiiiiiiPS3_
	.p2align	8
	.type	_ZN2at6native12_GLOBAL__N_122max_pool_backward_nchwIfflEEvPKT_PKlT1_S8_S8_S8_S8_S8_iiiiiiiiPS3_,@function
_ZN2at6native12_GLOBAL__N_122max_pool_backward_nchwIfflEEvPKT_PKlT1_S8_S8_S8_S8_S8_iiiiiiiiPS3_: ; @_ZN2at6native12_GLOBAL__N_122max_pool_backward_nchwIfflEEvPKT_PKlT1_S8_S8_S8_S8_S8_iiiiiiiiPS3_
; %bb.0:
	s_clause 0x1
	s_load_b32 s2, s[0:1], 0x74
	s_load_b512 s[4:19], s[0:1], 0x0
	v_mov_b32_e32 v2, 0
	s_mov_b32 s3, exec_lo
	s_delay_alu instid0(VALU_DEP_1) | instskip(SKIP_3) | instid1(VALU_DEP_1)
	v_mov_b32_e32 v1, v2
	s_wait_kmcnt 0x0
	s_and_b32 s2, s2, 0xffff
	s_mul_u64 s[12:13], s[14:15], s[12:13]
	v_mad_co_u64_u32 v[0:1], null, s2, ttmp9, v[0:1]
	s_delay_alu instid0(VALU_DEP_1)
	v_cmpx_gt_i64_e64 s[12:13], v[0:1]
	s_cbranch_execz .LBB21_43
; %bb.1:
	s_load_b256 s[20:27], s[0:1], 0x40
	s_add_nc_u64 s[28:29], s[0:1], 0x68
	s_load_b64 s[30:31], s[0:1], 0x60
	s_load_b32 s0, s[28:29], 0x0
	v_cvt_f32_u32_e32 v3, s14
	s_mov_b32 s35, 0
	s_and_b32 s34, ttmp7, 0xffff
	s_lshr_b32 s36, ttmp7, 16
	s_mov_b32 s37, s35
	v_rcp_iflag_f32_e32 v3, v3
	v_cmp_gt_i64_e64 s75, s[8:9], s[34:35]
	v_cmp_gt_i64_e64 s76, s[10:11], s[36:37]
	s_mov_b64 s[38:39], s[34:35]
	s_lshl_b64 s[46:47], s[18:19], 3
	s_lshl_b64 s[52:53], s[18:19], 2
	s_ashr_i32 s54, s15, 31
	s_mov_b32 s78, 0
	s_wait_kmcnt 0x0
	s_mov_b32 s40, s22
	s_add_co_i32 s1, s20, -1
	v_cvt_f32_u32_e32 v4, s40
	s_add_co_i32 s3, s21, -1
	s_wait_alu 0xfffe
	s_mul_i32 s1, s26, s1
	s_mul_i32 s3, s27, s3
	s_ashr_i32 s33, s24, 31
	v_rcp_iflag_f32_e32 v4, v4
	v_mul_f32_e32 v3, 0x4f7ffffe, v3
	s_mov_b32 s72, s24
	s_ashr_i32 s41, s22, 31
	s_wait_alu 0xfffe
	s_add_co_i32 s22, s1, 1
	s_add_co_i32 s24, s3, 1
	s_mul_i32 s77, s0, s2
	s_mul_u64 s[0:1], s[10:11], s[34:35]
	s_mul_u64 s[2:3], s[18:19], s[16:17]
	s_wait_alu 0xfffe
	s_add_nc_u64 s[0:1], s[0:1], s[36:37]
	v_mul_f32_e32 v4, 0x4f7ffffe, v4
	v_cvt_u32_f32_e32 v32, v3
	s_mul_u64 s[48:49], s[2:3], s[10:11]
	s_ashr_i32 s73, s25, 31
	s_mov_b32 s74, s25
	v_cvt_u32_f32_e32 v33, v4
	s_ashr_i32 s21, s23, 31
	s_mov_b32 s20, s23
	s_ashr_i32 s23, s22, 31
	s_ashr_i32 s25, s24, 31
	s_wait_alu 0xfffe
	s_mul_u64 s[26:27], s[16:17], s[0:1]
	s_lshl_b64 s[42:43], s[48:49], 3
	s_lshl_b64 s[44:45], s[2:3], 3
	;; [unrolled: 1-line block ×4, first 2 shown]
	s_branch .LBB21_3
.LBB21_2:                               ;   in Loop: Header=BB21_3 Depth=1
	v_add_co_u32 v0, vcc_lo, v0, s77
	s_wait_alu 0xfffd
	v_add_co_ci_u32_e64 v1, null, 0, v1, vcc_lo
	s_delay_alu instid0(VALU_DEP_1) | instskip(SKIP_1) | instid1(SALU_CYCLE_1)
	v_cmp_le_i64_e32 vcc_lo, s[12:13], v[0:1]
	s_or_b32 s78, vcc_lo, s78
	s_and_not1_b32 exec_lo, exec_lo, s78
	s_cbranch_execz .LBB21_43
.LBB21_3:                               ; =>This Loop Header: Depth=1
                                        ;     Child Loop BB21_30 Depth 2
                                        ;       Child Loop BB21_34 Depth 3
                                        ;         Child Loop BB21_38 Depth 4
                                        ;           Child Loop BB21_41 Depth 5
	v_or_b32_e32 v3, s15, v1
                                        ; implicit-def: $vgpr8_vgpr9
	s_mov_b32 s0, exec_lo
	s_delay_alu instid0(VALU_DEP_1)
	v_cmpx_ne_u64_e32 0, v[2:3]
	s_wait_alu 0xfffe
	s_xor_b32 s1, exec_lo, s0
	s_cbranch_execz .LBB21_5
; %bb.4:                                ;   in Loop: Header=BB21_3 Depth=1
	s_mov_b32 s55, s54
	v_ashrrev_i32_e32 v9, 31, v1
	s_wait_alu 0xfffe
	s_add_nc_u64 s[2:3], s[14:15], s[54:55]
	s_wait_alu 0xfffe
	s_xor_b64 s[2:3], s[2:3], s[54:55]
	v_add_co_u32 v3, vcc_lo, v0, v9
	s_wait_alu 0xfffe
	s_cvt_f32_u32 s0, s2
	s_cvt_f32_u32 s34, s3
	s_sub_nc_u64 s[58:59], 0, s[2:3]
	s_wait_alu 0xfffd
	v_add_co_ci_u32_e64 v4, null, v1, v9, vcc_lo
	s_wait_alu 0xfffe
	s_fmamk_f32 s0, s34, 0x4f800000, s0
	v_xor_b32_e32 v10, v3, v9
	s_delay_alu instid0(VALU_DEP_2) | instskip(SKIP_2) | instid1(TRANS32_DEP_1)
	v_xor_b32_e32 v11, v4, v9
	s_wait_alu 0xfffe
	v_s_rcp_f32 s0, s0
	s_mul_f32 s0, s0, 0x5f7ffffc
	s_wait_alu 0xfffe
	s_delay_alu instid0(SALU_CYCLE_2) | instskip(SKIP_1) | instid1(SALU_CYCLE_2)
	s_mul_f32 s34, s0, 0x2f800000
	s_wait_alu 0xfffe
	s_trunc_f32 s34, s34
	s_wait_alu 0xfffe
	s_delay_alu instid0(SALU_CYCLE_2) | instskip(SKIP_2) | instid1(SALU_CYCLE_1)
	s_fmamk_f32 s0, s34, 0xcf800000, s0
	s_cvt_u32_f32 s57, s34
	s_wait_alu 0xfffe
	s_cvt_u32_f32 s56, s0
	s_wait_alu 0xfffe
	s_delay_alu instid0(SALU_CYCLE_2)
	s_mul_u64 s[60:61], s[58:59], s[56:57]
	s_wait_alu 0xfffe
	s_mul_hi_u32 s63, s56, s61
	s_mul_i32 s62, s56, s61
	s_mul_hi_u32 s34, s56, s60
	s_mul_i32 s55, s57, s60
	s_wait_alu 0xfffe
	s_add_nc_u64 s[62:63], s[34:35], s[62:63]
	s_mul_hi_u32 s0, s57, s60
	s_mul_hi_u32 s64, s57, s61
	s_wait_alu 0xfffe
	s_add_co_u32 s34, s62, s55
	s_add_co_ci_u32 s34, s63, s0
	s_mul_i32 s60, s57, s61
	s_add_co_ci_u32 s61, s64, 0
	s_wait_alu 0xfffe
	s_add_nc_u64 s[60:61], s[34:35], s[60:61]
	s_wait_alu 0xfffe
	s_add_co_u32 s56, s56, s60
	s_cselect_b32 s0, -1, 0
	s_wait_alu 0xfffe
	s_cmp_lg_u32 s0, 0
	s_add_co_ci_u32 s57, s57, s61
	s_wait_alu 0xfffe
	s_mul_u64 s[58:59], s[58:59], s[56:57]
	s_wait_alu 0xfffe
	s_mul_hi_u32 s61, s56, s59
	s_mul_i32 s60, s56, s59
	s_mul_hi_u32 s34, s56, s58
	s_mul_i32 s55, s57, s58
	s_wait_alu 0xfffe
	s_add_nc_u64 s[60:61], s[34:35], s[60:61]
	s_mul_hi_u32 s0, s57, s58
	s_mul_hi_u32 s62, s57, s59
	s_wait_alu 0xfffe
	s_add_co_u32 s34, s60, s55
	s_add_co_ci_u32 s34, s61, s0
	s_mul_i32 s58, s57, s59
	s_add_co_ci_u32 s59, s62, 0
	s_wait_alu 0xfffe
	s_add_nc_u64 s[58:59], s[34:35], s[58:59]
	s_wait_alu 0xfffe
	s_add_co_u32 s0, s56, s58
	s_cselect_b32 s34, -1, 0
	s_wait_alu 0xfffe
	v_mul_hi_u32 v12, v10, s0
	s_cmp_lg_u32 s34, 0
	v_mad_co_u64_u32 v[5:6], null, v11, s0, 0
	s_add_co_ci_u32 s34, s57, s59
	s_wait_alu 0xfffe
	v_mad_co_u64_u32 v[3:4], null, v10, s34, 0
	v_mad_co_u64_u32 v[7:8], null, v11, s34, 0
	s_delay_alu instid0(VALU_DEP_2) | instskip(SKIP_1) | instid1(VALU_DEP_3)
	v_add_co_u32 v3, vcc_lo, v12, v3
	s_wait_alu 0xfffd
	v_add_co_ci_u32_e64 v4, null, 0, v4, vcc_lo
	s_delay_alu instid0(VALU_DEP_2) | instskip(SKIP_1) | instid1(VALU_DEP_2)
	v_add_co_u32 v3, vcc_lo, v3, v5
	s_wait_alu 0xfffd
	v_add_co_ci_u32_e32 v3, vcc_lo, v4, v6, vcc_lo
	s_wait_alu 0xfffd
	v_add_co_ci_u32_e32 v4, vcc_lo, 0, v8, vcc_lo
	s_delay_alu instid0(VALU_DEP_2) | instskip(SKIP_1) | instid1(VALU_DEP_2)
	v_add_co_u32 v5, vcc_lo, v3, v7
	s_wait_alu 0xfffd
	v_add_co_ci_u32_e64 v6, null, 0, v4, vcc_lo
	s_delay_alu instid0(VALU_DEP_2) | instskip(SKIP_1) | instid1(VALU_DEP_3)
	v_mul_lo_u32 v7, s3, v5
	v_mad_co_u64_u32 v[3:4], null, s2, v5, 0
	v_mul_lo_u32 v8, s2, v6
	s_delay_alu instid0(VALU_DEP_2) | instskip(NEXT) | instid1(VALU_DEP_2)
	v_sub_co_u32 v3, vcc_lo, v10, v3
	v_add3_u32 v4, v4, v8, v7
	v_add_co_u32 v8, s0, v5, 2
	s_wait_alu 0xf1ff
	v_add_co_ci_u32_e64 v10, null, 0, v6, s0
	s_delay_alu instid0(VALU_DEP_3) | instskip(SKIP_3) | instid1(VALU_DEP_3)
	v_sub_nc_u32_e32 v7, v11, v4
	v_sub_co_u32 v12, s0, v3, s2
	s_wait_alu 0xfffd
	v_sub_co_ci_u32_e64 v4, null, v11, v4, vcc_lo
	v_subrev_co_ci_u32_e64 v7, null, s3, v7, vcc_lo
	s_delay_alu instid0(VALU_DEP_3) | instskip(SKIP_1) | instid1(VALU_DEP_2)
	v_cmp_le_u32_e32 vcc_lo, s2, v12
	s_wait_alu 0xf1ff
	v_subrev_co_ci_u32_e64 v7, null, 0, v7, s0
	s_wait_alu 0xfffd
	v_cndmask_b32_e64 v11, 0, -1, vcc_lo
	s_delay_alu instid0(VALU_DEP_2)
	v_cmp_le_u32_e32 vcc_lo, s3, v7
	s_wait_alu 0xfffd
	v_cndmask_b32_e64 v12, 0, -1, vcc_lo
	v_cmp_le_u32_e32 vcc_lo, s2, v3
	s_wait_alu 0xfffd
	v_cndmask_b32_e64 v3, 0, -1, vcc_lo
	;; [unrolled: 3-line block ×3, first 2 shown]
	v_cmp_eq_u32_e32 vcc_lo, s3, v7
	s_wait_alu 0xfffd
	v_cndmask_b32_e32 v7, v12, v11, vcc_lo
	v_add_co_u32 v11, vcc_lo, v5, 1
	s_wait_alu 0xfffd
	v_add_co_ci_u32_e64 v12, null, 0, v6, vcc_lo
	v_cmp_eq_u32_e32 vcc_lo, s3, v4
	s_wait_alu 0xfffd
	v_cndmask_b32_e32 v3, v13, v3, vcc_lo
	v_cmp_ne_u32_e32 vcc_lo, 0, v7
	v_xor_b32_e32 v7, s54, v9
	s_wait_alu 0xfffd
	v_cndmask_b32_e32 v4, v12, v10, vcc_lo
	v_cmp_ne_u32_e64 s0, 0, v3
	v_cndmask_b32_e32 v3, v11, v8, vcc_lo
	s_wait_alu 0xf1ff
	s_delay_alu instid0(VALU_DEP_2) | instskip(NEXT) | instid1(VALU_DEP_2)
	v_cndmask_b32_e64 v4, v6, v4, s0
	v_cndmask_b32_e64 v3, v5, v3, s0
	s_delay_alu instid0(VALU_DEP_2) | instskip(NEXT) | instid1(VALU_DEP_2)
	v_xor_b32_e32 v4, v4, v7
	v_xor_b32_e32 v3, v3, v7
	s_delay_alu instid0(VALU_DEP_1) | instskip(SKIP_1) | instid1(VALU_DEP_3)
	v_sub_co_u32 v8, vcc_lo, v3, v7
	s_wait_alu 0xfffd
	v_sub_co_ci_u32_e64 v9, null, v4, v7, vcc_lo
.LBB21_5:                               ;   in Loop: Header=BB21_3 Depth=1
	s_wait_alu 0xfffe
	s_and_not1_saveexec_b32 s0, s1
	s_cbranch_execz .LBB21_7
; %bb.6:                                ;   in Loop: Header=BB21_3 Depth=1
	s_sub_co_i32 s1, 0, s14
	v_mov_b32_e32 v9, v2
	s_wait_alu 0xfffe
	v_mul_lo_u32 v3, s1, v32
	s_delay_alu instid0(VALU_DEP_1) | instskip(NEXT) | instid1(VALU_DEP_1)
	v_mul_hi_u32 v3, v32, v3
	v_add_nc_u32_e32 v3, v32, v3
	s_delay_alu instid0(VALU_DEP_1) | instskip(NEXT) | instid1(VALU_DEP_1)
	v_mul_hi_u32 v3, v0, v3
	v_mul_lo_u32 v4, v3, s14
	s_delay_alu instid0(VALU_DEP_1) | instskip(NEXT) | instid1(VALU_DEP_1)
	v_sub_nc_u32_e32 v4, v0, v4
	v_subrev_nc_u32_e32 v6, s14, v4
	v_cmp_le_u32_e32 vcc_lo, s14, v4
	s_wait_alu 0xfffd
	s_delay_alu instid0(VALU_DEP_2) | instskip(NEXT) | instid1(VALU_DEP_1)
	v_dual_cndmask_b32 v4, v4, v6 :: v_dual_add_nc_u32 v5, 1, v3
	v_cndmask_b32_e32 v3, v3, v5, vcc_lo
	s_delay_alu instid0(VALU_DEP_2) | instskip(NEXT) | instid1(VALU_DEP_2)
	v_cmp_le_u32_e32 vcc_lo, s14, v4
	v_add_nc_u32_e32 v5, 1, v3
	s_wait_alu 0xfffd
	s_delay_alu instid0(VALU_DEP_1)
	v_cndmask_b32_e32 v8, v3, v5, vcc_lo
.LBB21_7:                               ;   in Loop: Header=BB21_3 Depth=1
	s_wait_alu 0xfffe
	s_or_b32 exec_lo, exec_lo, s0
	s_delay_alu instid0(VALU_DEP_1)
	v_add_co_u32 v10, vcc_lo, v8, s72
	v_mov_b32_e32 v4, 0
	s_wait_alu 0xfffd
	v_add_co_ci_u32_e64 v11, null, s33, v9, vcc_lo
	v_mov_b32_e32 v5, 0
	s_mov_b32 s1, exec_lo
	s_delay_alu instid0(VALU_DEP_2)
	v_cmpx_le_i64_e64 s[22:23], v[10:11]
	s_cbranch_execz .LBB21_13
; %bb.8:                                ;   in Loop: Header=BB21_3 Depth=1
	v_sub_co_u32 v6, vcc_lo, v10, s22
	s_wait_alu 0xfffd
	v_subrev_co_ci_u32_e64 v7, null, s23, v11, vcc_lo
                                        ; implicit-def: $vgpr4_vgpr5
	s_mov_b32 s0, exec_lo
	v_or_b32_e32 v3, s41, v7
	s_delay_alu instid0(VALU_DEP_1)
	v_cmpx_ne_u64_e32 0, v[2:3]
	s_wait_alu 0xfffe
	s_xor_b32 s55, exec_lo, s0
	s_cbranch_execz .LBB21_10
; %bb.9:                                ;   in Loop: Header=BB21_3 Depth=1
	s_ashr_i32 s2, s41, 31
	v_ashrrev_i32_e32 v14, 31, v7
	s_wait_alu 0xfffe
	s_mov_b32 s3, s2
	s_wait_alu 0xfffe
	s_add_nc_u64 s[56:57], s[40:41], s[2:3]
	v_add_co_u32 v3, vcc_lo, v6, v14
	s_wait_alu 0xfffe
	s_xor_b64 s[56:57], s[56:57], s[2:3]
	s_wait_alu 0xfffd
	v_add_co_ci_u32_e64 v4, null, v7, v14, vcc_lo
	s_wait_alu 0xfffe
	s_cvt_f32_u32 s0, s56
	s_cvt_f32_u32 s3, s57
	s_sub_nc_u64 s[60:61], 0, s[56:57]
	v_xor_b32_e32 v7, v3, v14
	v_xor_b32_e32 v15, v4, v14
	s_wait_alu 0xfffe
	s_fmamk_f32 s0, s3, 0x4f800000, s0
	s_wait_alu 0xfffe
	s_delay_alu instid0(SALU_CYCLE_2) | instskip(NEXT) | instid1(TRANS32_DEP_1)
	v_s_rcp_f32 s0, s0
	s_mul_f32 s0, s0, 0x5f7ffffc
	s_wait_alu 0xfffe
	s_delay_alu instid0(SALU_CYCLE_2) | instskip(SKIP_1) | instid1(SALU_CYCLE_2)
	s_mul_f32 s3, s0, 0x2f800000
	s_wait_alu 0xfffe
	s_trunc_f32 s3, s3
	s_wait_alu 0xfffe
	s_delay_alu instid0(SALU_CYCLE_2) | instskip(SKIP_2) | instid1(SALU_CYCLE_1)
	s_fmamk_f32 s0, s3, 0xcf800000, s0
	s_cvt_u32_f32 s59, s3
	s_wait_alu 0xfffe
	s_cvt_u32_f32 s58, s0
	s_wait_alu 0xfffe
	s_delay_alu instid0(SALU_CYCLE_2)
	s_mul_u64 s[62:63], s[60:61], s[58:59]
	s_wait_alu 0xfffe
	s_mul_hi_u32 s65, s58, s63
	s_mul_i32 s64, s58, s63
	s_mul_hi_u32 s34, s58, s62
	s_mul_i32 s3, s59, s62
	s_wait_alu 0xfffe
	s_add_nc_u64 s[64:65], s[34:35], s[64:65]
	s_mul_hi_u32 s0, s59, s62
	s_mul_hi_u32 s66, s59, s63
	s_add_co_u32 s3, s64, s3
	s_wait_alu 0xfffe
	s_add_co_ci_u32 s34, s65, s0
	s_mul_i32 s62, s59, s63
	s_add_co_ci_u32 s63, s66, 0
	s_wait_alu 0xfffe
	s_add_nc_u64 s[62:63], s[34:35], s[62:63]
	s_wait_alu 0xfffe
	s_add_co_u32 s58, s58, s62
	s_cselect_b32 s0, -1, 0
	s_wait_alu 0xfffe
	s_cmp_lg_u32 s0, 0
	s_add_co_ci_u32 s59, s59, s63
	s_wait_alu 0xfffe
	s_mul_u64 s[60:61], s[60:61], s[58:59]
	s_wait_alu 0xfffe
	s_mul_hi_u32 s63, s58, s61
	s_mul_i32 s62, s58, s61
	s_mul_hi_u32 s34, s58, s60
	s_mul_i32 s3, s59, s60
	s_wait_alu 0xfffe
	s_add_nc_u64 s[62:63], s[34:35], s[62:63]
	s_mul_hi_u32 s0, s59, s60
	s_mul_hi_u32 s64, s59, s61
	s_wait_alu 0xfffe
	s_add_co_u32 s3, s62, s3
	s_add_co_ci_u32 s34, s63, s0
	s_mul_i32 s60, s59, s61
	s_add_co_ci_u32 s61, s64, 0
	s_wait_alu 0xfffe
	s_add_nc_u64 s[60:61], s[34:35], s[60:61]
	s_wait_alu 0xfffe
	s_add_co_u32 s0, s58, s60
	s_cselect_b32 s3, -1, 0
	s_wait_alu 0xfffe
	v_mul_hi_u32 v16, v7, s0
	s_cmp_lg_u32 s3, 0
	v_mad_co_u64_u32 v[5:6], null, v15, s0, 0
	s_add_co_ci_u32 s3, s59, s61
	s_wait_alu 0xfffe
	v_mad_co_u64_u32 v[3:4], null, v7, s3, 0
	v_mad_co_u64_u32 v[12:13], null, v15, s3, 0
	s_delay_alu instid0(VALU_DEP_2) | instskip(SKIP_1) | instid1(VALU_DEP_3)
	v_add_co_u32 v3, vcc_lo, v16, v3
	s_wait_alu 0xfffd
	v_add_co_ci_u32_e64 v4, null, 0, v4, vcc_lo
	s_delay_alu instid0(VALU_DEP_2) | instskip(SKIP_1) | instid1(VALU_DEP_2)
	v_add_co_u32 v3, vcc_lo, v3, v5
	s_wait_alu 0xfffd
	v_add_co_ci_u32_e32 v3, vcc_lo, v4, v6, vcc_lo
	s_wait_alu 0xfffd
	v_add_co_ci_u32_e32 v4, vcc_lo, 0, v13, vcc_lo
	s_delay_alu instid0(VALU_DEP_2) | instskip(SKIP_1) | instid1(VALU_DEP_2)
	v_add_co_u32 v5, vcc_lo, v3, v12
	s_wait_alu 0xfffd
	v_add_co_ci_u32_e64 v6, null, 0, v4, vcc_lo
	s_delay_alu instid0(VALU_DEP_2) | instskip(SKIP_1) | instid1(VALU_DEP_3)
	v_mul_lo_u32 v12, s57, v5
	v_mad_co_u64_u32 v[3:4], null, s56, v5, 0
	v_mul_lo_u32 v13, s56, v6
	s_delay_alu instid0(VALU_DEP_2) | instskip(NEXT) | instid1(VALU_DEP_2)
	v_sub_co_u32 v3, vcc_lo, v7, v3
	v_add3_u32 v4, v4, v13, v12
	s_delay_alu instid0(VALU_DEP_1) | instskip(SKIP_2) | instid1(VALU_DEP_2)
	v_sub_nc_u32_e32 v12, v15, v4
	s_wait_alu 0xfffd
	v_sub_co_ci_u32_e64 v4, null, v15, v4, vcc_lo
	v_subrev_co_ci_u32_e64 v7, null, s57, v12, vcc_lo
	v_add_co_u32 v12, s0, v5, 2
	s_wait_alu 0xf1ff
	v_add_co_ci_u32_e64 v13, null, 0, v6, s0
	v_sub_co_u32 v16, s0, v3, s56
	s_wait_alu 0xf1ff
	v_subrev_co_ci_u32_e64 v7, null, 0, v7, s0
	s_delay_alu instid0(VALU_DEP_2) | instskip(SKIP_2) | instid1(VALU_DEP_3)
	v_cmp_le_u32_e32 vcc_lo, s56, v16
	s_wait_alu 0xfffd
	v_cndmask_b32_e64 v15, 0, -1, vcc_lo
	v_cmp_le_u32_e32 vcc_lo, s57, v7
	s_wait_alu 0xfffd
	v_cndmask_b32_e64 v16, 0, -1, vcc_lo
	;; [unrolled: 3-line block ×4, first 2 shown]
	v_cmp_eq_u32_e32 vcc_lo, s57, v7
	s_wait_alu 0xfffd
	v_cndmask_b32_e32 v7, v16, v15, vcc_lo
	v_add_co_u32 v15, vcc_lo, v5, 1
	s_wait_alu 0xfffd
	v_add_co_ci_u32_e64 v16, null, 0, v6, vcc_lo
	v_cmp_eq_u32_e32 vcc_lo, s57, v4
	s_wait_alu 0xfffd
	v_cndmask_b32_e32 v3, v17, v3, vcc_lo
	v_cmp_ne_u32_e32 vcc_lo, 0, v7
	v_xor_b32_e32 v7, s2, v14
	s_wait_alu 0xfffd
	v_cndmask_b32_e32 v4, v16, v13, vcc_lo
	v_cmp_ne_u32_e64 s0, 0, v3
	v_cndmask_b32_e32 v3, v15, v12, vcc_lo
	s_wait_alu 0xf1ff
	s_delay_alu instid0(VALU_DEP_2) | instskip(NEXT) | instid1(VALU_DEP_2)
	v_cndmask_b32_e64 v4, v6, v4, s0
	v_cndmask_b32_e64 v3, v5, v3, s0
                                        ; implicit-def: $vgpr6
	s_delay_alu instid0(VALU_DEP_2) | instskip(NEXT) | instid1(VALU_DEP_2)
	v_xor_b32_e32 v5, v4, v7
	v_xor_b32_e32 v3, v3, v7
	s_delay_alu instid0(VALU_DEP_1) | instskip(SKIP_1) | instid1(VALU_DEP_3)
	v_sub_co_u32 v4, vcc_lo, v3, v7
	s_wait_alu 0xfffd
	v_sub_co_ci_u32_e64 v5, null, v5, v7, vcc_lo
.LBB21_10:                              ;   in Loop: Header=BB21_3 Depth=1
	s_wait_alu 0xfffe
	s_and_not1_saveexec_b32 s0, s55
	s_cbranch_execz .LBB21_12
; %bb.11:                               ;   in Loop: Header=BB21_3 Depth=1
	s_sub_co_i32 s2, 0, s40
	s_wait_alu 0xfffe
	v_mul_lo_u32 v3, s2, v33
	s_delay_alu instid0(VALU_DEP_1) | instskip(NEXT) | instid1(VALU_DEP_1)
	v_mul_hi_u32 v3, v33, v3
	v_add_nc_u32_e32 v3, v33, v3
	s_delay_alu instid0(VALU_DEP_1) | instskip(NEXT) | instid1(VALU_DEP_1)
	v_mul_hi_u32 v3, v6, v3
	v_mul_lo_u32 v4, v3, s40
	v_add_nc_u32_e32 v5, 1, v3
	s_delay_alu instid0(VALU_DEP_2) | instskip(NEXT) | instid1(VALU_DEP_1)
	v_sub_nc_u32_e32 v4, v6, v4
	v_subrev_nc_u32_e32 v6, s40, v4
	v_cmp_le_u32_e32 vcc_lo, s40, v4
	s_wait_alu 0xfffd
	s_delay_alu instid0(VALU_DEP_2) | instskip(NEXT) | instid1(VALU_DEP_1)
	v_dual_cndmask_b32 v4, v4, v6 :: v_dual_cndmask_b32 v3, v3, v5
	v_cmp_le_u32_e32 vcc_lo, s40, v4
	s_delay_alu instid0(VALU_DEP_2) | instskip(SKIP_1) | instid1(VALU_DEP_1)
	v_add_nc_u32_e32 v5, 1, v3
	s_wait_alu 0xfffd
	v_dual_cndmask_b32 v4, v3, v5 :: v_dual_mov_b32 v5, v2
.LBB21_12:                              ;   in Loop: Header=BB21_3 Depth=1
	s_wait_alu 0xfffe
	s_or_b32 exec_lo, exec_lo, s0
	s_delay_alu instid0(VALU_DEP_1)
	v_add_co_u32 v4, vcc_lo, v4, 1
	s_wait_alu 0xfffd
	v_add_co_ci_u32_e64 v5, null, 0, v5, vcc_lo
.LBB21_13:                              ;   in Loop: Header=BB21_3 Depth=1
	s_wait_alu 0xfffe
	s_or_b32 exec_lo, exec_lo, s1
	v_or_b32_e32 v3, s41, v11
                                        ; implicit-def: $vgpr6_vgpr7
	s_mov_b32 s0, exec_lo
	s_delay_alu instid0(VALU_DEP_1)
	v_cmpx_ne_u64_e32 0, v[2:3]
	s_wait_alu 0xfffe
	s_xor_b32 s1, exec_lo, s0
	s_cbranch_execz .LBB21_15
; %bb.14:                               ;   in Loop: Header=BB21_3 Depth=1
	s_ashr_i32 s2, s41, 31
	v_ashrrev_i32_e32 v3, 31, v11
	s_wait_alu 0xfffe
	s_mov_b32 s3, s2
	s_wait_alu 0xfffe
	s_add_nc_u64 s[56:57], s[40:41], s[2:3]
	v_add_co_u32 v6, vcc_lo, v10, v3
	s_wait_alu 0xfffe
	s_xor_b64 s[56:57], s[56:57], s[2:3]
	s_wait_alu 0xfffd
	v_add_co_ci_u32_e64 v7, null, v11, v3, vcc_lo
	s_wait_alu 0xfffe
	s_cvt_f32_u32 s0, s56
	s_cvt_f32_u32 s3, s57
	s_sub_nc_u64 s[60:61], 0, s[56:57]
	v_xor_b32_e32 v14, v6, v3
	v_xor_b32_e32 v15, v7, v3
	s_wait_alu 0xfffe
	s_fmamk_f32 s0, s3, 0x4f800000, s0
	v_xor_b32_e32 v3, s2, v3
	s_wait_alu 0xfffe
	s_delay_alu instid0(SALU_CYCLE_1) | instskip(NEXT) | instid1(TRANS32_DEP_1)
	v_s_rcp_f32 s0, s0
	s_mul_f32 s0, s0, 0x5f7ffffc
	s_wait_alu 0xfffe
	s_delay_alu instid0(SALU_CYCLE_2) | instskip(SKIP_1) | instid1(SALU_CYCLE_2)
	s_mul_f32 s3, s0, 0x2f800000
	s_wait_alu 0xfffe
	s_trunc_f32 s3, s3
	s_wait_alu 0xfffe
	s_delay_alu instid0(SALU_CYCLE_2) | instskip(SKIP_2) | instid1(SALU_CYCLE_1)
	s_fmamk_f32 s0, s3, 0xcf800000, s0
	s_cvt_u32_f32 s59, s3
	s_wait_alu 0xfffe
	s_cvt_u32_f32 s58, s0
	s_wait_alu 0xfffe
	s_delay_alu instid0(SALU_CYCLE_2)
	s_mul_u64 s[62:63], s[60:61], s[58:59]
	s_wait_alu 0xfffe
	s_mul_hi_u32 s65, s58, s63
	s_mul_i32 s64, s58, s63
	s_mul_hi_u32 s34, s58, s62
	s_mul_i32 s3, s59, s62
	s_wait_alu 0xfffe
	s_add_nc_u64 s[64:65], s[34:35], s[64:65]
	s_mul_hi_u32 s0, s59, s62
	s_mul_hi_u32 s55, s59, s63
	s_add_co_u32 s3, s64, s3
	s_wait_alu 0xfffe
	s_add_co_ci_u32 s34, s65, s0
	s_mul_i32 s62, s59, s63
	s_add_co_ci_u32 s63, s55, 0
	s_wait_alu 0xfffe
	s_add_nc_u64 s[62:63], s[34:35], s[62:63]
	s_wait_alu 0xfffe
	s_add_co_u32 s58, s58, s62
	s_cselect_b32 s0, -1, 0
	s_wait_alu 0xfffe
	s_cmp_lg_u32 s0, 0
	s_add_co_ci_u32 s59, s59, s63
	s_wait_alu 0xfffe
	s_mul_u64 s[60:61], s[60:61], s[58:59]
	s_wait_alu 0xfffe
	s_mul_hi_u32 s63, s58, s61
	s_mul_i32 s62, s58, s61
	s_mul_hi_u32 s34, s58, s60
	s_mul_i32 s3, s59, s60
	s_wait_alu 0xfffe
	s_add_nc_u64 s[62:63], s[34:35], s[62:63]
	s_mul_hi_u32 s0, s59, s60
	s_mul_hi_u32 s55, s59, s61
	s_wait_alu 0xfffe
	s_add_co_u32 s3, s62, s3
	s_add_co_ci_u32 s34, s63, s0
	s_mul_i32 s60, s59, s61
	s_add_co_ci_u32 s61, s55, 0
	s_wait_alu 0xfffe
	s_add_nc_u64 s[60:61], s[34:35], s[60:61]
	s_wait_alu 0xfffe
	s_add_co_u32 s0, s58, s60
	s_cselect_b32 s3, -1, 0
	s_wait_alu 0xfffe
	v_mul_hi_u32 v16, v14, s0
	s_cmp_lg_u32 s3, 0
	v_mad_co_u64_u32 v[10:11], null, v15, s0, 0
	s_add_co_ci_u32 s3, s59, s61
	s_wait_alu 0xfffe
	v_mad_co_u64_u32 v[6:7], null, v14, s3, 0
	v_mad_co_u64_u32 v[12:13], null, v15, s3, 0
	s_delay_alu instid0(VALU_DEP_2) | instskip(SKIP_1) | instid1(VALU_DEP_3)
	v_add_co_u32 v6, vcc_lo, v16, v6
	s_wait_alu 0xfffd
	v_add_co_ci_u32_e64 v7, null, 0, v7, vcc_lo
	s_delay_alu instid0(VALU_DEP_2) | instskip(SKIP_1) | instid1(VALU_DEP_2)
	v_add_co_u32 v6, vcc_lo, v6, v10
	s_wait_alu 0xfffd
	v_add_co_ci_u32_e32 v6, vcc_lo, v7, v11, vcc_lo
	s_wait_alu 0xfffd
	v_add_co_ci_u32_e32 v7, vcc_lo, 0, v13, vcc_lo
	s_delay_alu instid0(VALU_DEP_2) | instskip(SKIP_1) | instid1(VALU_DEP_2)
	v_add_co_u32 v10, vcc_lo, v6, v12
	s_wait_alu 0xfffd
	v_add_co_ci_u32_e64 v11, null, 0, v7, vcc_lo
	s_delay_alu instid0(VALU_DEP_2) | instskip(SKIP_1) | instid1(VALU_DEP_3)
	v_mul_lo_u32 v12, s57, v10
	v_mad_co_u64_u32 v[6:7], null, s56, v10, 0
	v_mul_lo_u32 v13, s56, v11
	s_delay_alu instid0(VALU_DEP_2) | instskip(NEXT) | instid1(VALU_DEP_2)
	v_sub_co_u32 v6, vcc_lo, v14, v6
	v_add3_u32 v7, v7, v13, v12
	v_add_co_u32 v13, s0, v10, 2
	s_wait_alu 0xf1ff
	v_add_co_ci_u32_e64 v14, null, 0, v11, s0
	s_delay_alu instid0(VALU_DEP_3) | instskip(SKIP_3) | instid1(VALU_DEP_3)
	v_sub_nc_u32_e32 v12, v15, v7
	v_sub_co_u32 v16, s0, v6, s56
	s_wait_alu 0xfffd
	v_sub_co_ci_u32_e64 v7, null, v15, v7, vcc_lo
	v_subrev_co_ci_u32_e64 v12, null, s57, v12, vcc_lo
	s_delay_alu instid0(VALU_DEP_3) | instskip(SKIP_1) | instid1(VALU_DEP_2)
	v_cmp_le_u32_e32 vcc_lo, s56, v16
	s_wait_alu 0xf1ff
	v_subrev_co_ci_u32_e64 v12, null, 0, v12, s0
	s_wait_alu 0xfffd
	v_cndmask_b32_e64 v15, 0, -1, vcc_lo
	s_delay_alu instid0(VALU_DEP_2)
	v_cmp_le_u32_e32 vcc_lo, s57, v12
	s_wait_alu 0xfffd
	v_cndmask_b32_e64 v16, 0, -1, vcc_lo
	v_cmp_le_u32_e32 vcc_lo, s56, v6
	s_wait_alu 0xfffd
	v_cndmask_b32_e64 v6, 0, -1, vcc_lo
	;; [unrolled: 3-line block ×3, first 2 shown]
	v_cmp_eq_u32_e32 vcc_lo, s57, v12
	s_wait_alu 0xfffd
	v_cndmask_b32_e32 v12, v16, v15, vcc_lo
	v_add_co_u32 v15, vcc_lo, v10, 1
	s_wait_alu 0xfffd
	v_add_co_ci_u32_e64 v16, null, 0, v11, vcc_lo
	v_cmp_eq_u32_e32 vcc_lo, s57, v7
	s_wait_alu 0xfffd
	v_cndmask_b32_e32 v6, v17, v6, vcc_lo
	v_cmp_ne_u32_e32 vcc_lo, 0, v12
	s_delay_alu instid0(VALU_DEP_2) | instskip(SKIP_3) | instid1(VALU_DEP_1)
	v_cmp_ne_u32_e64 s0, 0, v6
	s_wait_alu 0xfffd
	v_dual_cndmask_b32 v7, v16, v14 :: v_dual_cndmask_b32 v6, v15, v13
	s_wait_alu 0xf1ff
	v_cndmask_b32_e64 v7, v11, v7, s0
	s_delay_alu instid0(VALU_DEP_2) | instskip(NEXT) | instid1(VALU_DEP_2)
	v_cndmask_b32_e64 v6, v10, v6, s0
                                        ; implicit-def: $vgpr10
	v_xor_b32_e32 v7, v7, v3
	s_delay_alu instid0(VALU_DEP_2) | instskip(NEXT) | instid1(VALU_DEP_1)
	v_xor_b32_e32 v6, v6, v3
	v_sub_co_u32 v6, vcc_lo, v6, v3
	s_wait_alu 0xfffd
	s_delay_alu instid0(VALU_DEP_3)
	v_sub_co_ci_u32_e64 v7, null, v7, v3, vcc_lo
.LBB21_15:                              ;   in Loop: Header=BB21_3 Depth=1
	s_wait_alu 0xfffe
	s_and_not1_saveexec_b32 s0, s1
	s_cbranch_execz .LBB21_17
; %bb.16:                               ;   in Loop: Header=BB21_3 Depth=1
	s_sub_co_i32 s1, 0, s40
	s_wait_alu 0xfffe
	v_mul_lo_u32 v3, s1, v33
	s_delay_alu instid0(VALU_DEP_1) | instskip(NEXT) | instid1(VALU_DEP_1)
	v_mul_hi_u32 v3, v33, v3
	v_add_nc_u32_e32 v3, v33, v3
	s_delay_alu instid0(VALU_DEP_1) | instskip(NEXT) | instid1(VALU_DEP_1)
	v_mul_hi_u32 v3, v10, v3
	v_mul_lo_u32 v6, v3, s40
	v_add_nc_u32_e32 v7, 1, v3
	s_delay_alu instid0(VALU_DEP_2) | instskip(NEXT) | instid1(VALU_DEP_1)
	v_sub_nc_u32_e32 v6, v10, v6
	v_subrev_nc_u32_e32 v10, s40, v6
	v_cmp_le_u32_e32 vcc_lo, s40, v6
	s_wait_alu 0xfffd
	s_delay_alu instid0(VALU_DEP_2) | instskip(NEXT) | instid1(VALU_DEP_1)
	v_dual_cndmask_b32 v6, v6, v10 :: v_dual_cndmask_b32 v3, v3, v7
	v_cmp_le_u32_e32 vcc_lo, s40, v6
	s_delay_alu instid0(VALU_DEP_2) | instskip(SKIP_1) | instid1(VALU_DEP_1)
	v_add_nc_u32_e32 v7, 1, v3
	s_wait_alu 0xfffd
	v_dual_cndmask_b32 v6, v3, v7 :: v_dual_mov_b32 v7, v2
.LBB21_17:                              ;   in Loop: Header=BB21_3 Depth=1
	s_wait_alu 0xfffe
	s_or_b32 exec_lo, exec_lo, s0
	v_mul_lo_u32 v3, v9, s14
	v_mul_lo_u32 v10, v8, s15
	v_mad_co_u64_u32 v[8:9], null, v8, s14, 0
	s_mov_b32 s1, exec_lo
	v_add3_u32 v3, v9, v10, v3
	v_sub_co_u32 v8, vcc_lo, v0, v8
	s_wait_alu 0xfffd
	s_delay_alu instid0(VALU_DEP_2) | instskip(NEXT) | instid1(VALU_DEP_2)
	v_sub_co_ci_u32_e64 v3, null, v1, v3, vcc_lo
	v_add_co_u32 v10, vcc_lo, v8, s74
	v_mov_b32_e32 v8, 0
	s_wait_alu 0xfffd
	s_delay_alu instid0(VALU_DEP_3) | instskip(SKIP_1) | instid1(VALU_DEP_2)
	v_add_co_ci_u32_e64 v11, null, s73, v3, vcc_lo
	v_mov_b32_e32 v9, 0
	v_cmpx_le_i64_e64 s[24:25], v[10:11]
	s_cbranch_execz .LBB21_23
; %bb.18:                               ;   in Loop: Header=BB21_3 Depth=1
	v_sub_co_u32 v12, vcc_lo, v10, s24
	s_wait_alu 0xfffd
	v_subrev_co_ci_u32_e64 v13, null, s25, v11, vcc_lo
                                        ; implicit-def: $vgpr8_vgpr9
	s_mov_b32 s0, exec_lo
	v_or_b32_e32 v3, s21, v13
	s_delay_alu instid0(VALU_DEP_1)
	v_cmpx_ne_u64_e32 0, v[2:3]
	s_wait_alu 0xfffe
	s_xor_b32 s55, exec_lo, s0
	s_cbranch_execz .LBB21_20
; %bb.19:                               ;   in Loop: Header=BB21_3 Depth=1
	s_ashr_i32 s2, s21, 31
	v_ashrrev_i32_e32 v3, 31, v13
	s_wait_alu 0xfffe
	s_mov_b32 s3, s2
	s_wait_alu 0xfffe
	s_add_nc_u64 s[56:57], s[20:21], s[2:3]
	v_add_co_u32 v8, vcc_lo, v12, v3
	s_wait_alu 0xfffe
	s_xor_b64 s[56:57], s[56:57], s[2:3]
	s_wait_alu 0xfffd
	v_add_co_ci_u32_e64 v9, null, v13, v3, vcc_lo
	s_wait_alu 0xfffe
	s_cvt_f32_u32 s0, s56
	s_cvt_f32_u32 s3, s57
	s_sub_nc_u64 s[60:61], 0, s[56:57]
	v_xor_b32_e32 v16, v8, v3
	v_xor_b32_e32 v17, v9, v3
	s_wait_alu 0xfffe
	s_fmamk_f32 s0, s3, 0x4f800000, s0
	v_xor_b32_e32 v3, s2, v3
	s_wait_alu 0xfffe
	s_delay_alu instid0(SALU_CYCLE_1) | instskip(NEXT) | instid1(TRANS32_DEP_1)
	v_s_rcp_f32 s0, s0
	s_mul_f32 s0, s0, 0x5f7ffffc
	s_wait_alu 0xfffe
	s_delay_alu instid0(SALU_CYCLE_2) | instskip(SKIP_1) | instid1(SALU_CYCLE_2)
	s_mul_f32 s3, s0, 0x2f800000
	s_wait_alu 0xfffe
	s_trunc_f32 s3, s3
	s_wait_alu 0xfffe
	s_delay_alu instid0(SALU_CYCLE_2) | instskip(SKIP_2) | instid1(SALU_CYCLE_1)
	s_fmamk_f32 s0, s3, 0xcf800000, s0
	s_cvt_u32_f32 s59, s3
	s_wait_alu 0xfffe
	s_cvt_u32_f32 s58, s0
	s_wait_alu 0xfffe
	s_delay_alu instid0(SALU_CYCLE_2)
	s_mul_u64 s[62:63], s[60:61], s[58:59]
	s_wait_alu 0xfffe
	s_mul_hi_u32 s65, s58, s63
	s_mul_i32 s64, s58, s63
	s_mul_hi_u32 s34, s58, s62
	s_mul_i32 s3, s59, s62
	s_wait_alu 0xfffe
	s_add_nc_u64 s[64:65], s[34:35], s[64:65]
	s_mul_hi_u32 s0, s59, s62
	s_mul_hi_u32 s66, s59, s63
	s_add_co_u32 s3, s64, s3
	s_wait_alu 0xfffe
	s_add_co_ci_u32 s34, s65, s0
	s_mul_i32 s62, s59, s63
	s_add_co_ci_u32 s63, s66, 0
	s_wait_alu 0xfffe
	s_add_nc_u64 s[62:63], s[34:35], s[62:63]
	s_wait_alu 0xfffe
	s_add_co_u32 s58, s58, s62
	s_cselect_b32 s0, -1, 0
	s_wait_alu 0xfffe
	s_cmp_lg_u32 s0, 0
	s_add_co_ci_u32 s59, s59, s63
	s_wait_alu 0xfffe
	s_mul_u64 s[60:61], s[60:61], s[58:59]
	s_wait_alu 0xfffe
	s_mul_hi_u32 s63, s58, s61
	s_mul_i32 s62, s58, s61
	s_mul_hi_u32 s34, s58, s60
	s_mul_i32 s3, s59, s60
	s_wait_alu 0xfffe
	s_add_nc_u64 s[62:63], s[34:35], s[62:63]
	s_mul_hi_u32 s0, s59, s60
	s_mul_hi_u32 s64, s59, s61
	s_wait_alu 0xfffe
	s_add_co_u32 s3, s62, s3
	s_add_co_ci_u32 s34, s63, s0
	s_mul_i32 s60, s59, s61
	s_add_co_ci_u32 s61, s64, 0
	s_wait_alu 0xfffe
	s_add_nc_u64 s[60:61], s[34:35], s[60:61]
	s_wait_alu 0xfffe
	s_add_co_u32 s0, s58, s60
	s_cselect_b32 s3, -1, 0
	s_wait_alu 0xfffe
	v_mul_hi_u32 v18, v16, s0
	s_cmp_lg_u32 s3, 0
	v_mad_co_u64_u32 v[12:13], null, v17, s0, 0
	s_add_co_ci_u32 s3, s59, s61
	s_wait_alu 0xfffe
	v_mad_co_u64_u32 v[8:9], null, v16, s3, 0
	v_mad_co_u64_u32 v[14:15], null, v17, s3, 0
	s_delay_alu instid0(VALU_DEP_2) | instskip(SKIP_1) | instid1(VALU_DEP_3)
	v_add_co_u32 v8, vcc_lo, v18, v8
	s_wait_alu 0xfffd
	v_add_co_ci_u32_e64 v9, null, 0, v9, vcc_lo
	s_delay_alu instid0(VALU_DEP_2) | instskip(SKIP_1) | instid1(VALU_DEP_2)
	v_add_co_u32 v8, vcc_lo, v8, v12
	s_wait_alu 0xfffd
	v_add_co_ci_u32_e32 v8, vcc_lo, v9, v13, vcc_lo
	s_wait_alu 0xfffd
	v_add_co_ci_u32_e32 v9, vcc_lo, 0, v15, vcc_lo
	s_delay_alu instid0(VALU_DEP_2) | instskip(SKIP_1) | instid1(VALU_DEP_2)
	v_add_co_u32 v12, vcc_lo, v8, v14
	s_wait_alu 0xfffd
	v_add_co_ci_u32_e64 v13, null, 0, v9, vcc_lo
	s_delay_alu instid0(VALU_DEP_2) | instskip(SKIP_1) | instid1(VALU_DEP_3)
	v_mul_lo_u32 v14, s57, v12
	v_mad_co_u64_u32 v[8:9], null, s56, v12, 0
	v_mul_lo_u32 v15, s56, v13
	s_delay_alu instid0(VALU_DEP_2) | instskip(NEXT) | instid1(VALU_DEP_2)
	v_sub_co_u32 v8, vcc_lo, v16, v8
	v_add3_u32 v9, v9, v15, v14
	v_add_co_u32 v15, s0, v12, 2
	s_wait_alu 0xf1ff
	v_add_co_ci_u32_e64 v16, null, 0, v13, s0
	s_delay_alu instid0(VALU_DEP_3) | instskip(SKIP_3) | instid1(VALU_DEP_3)
	v_sub_nc_u32_e32 v14, v17, v9
	v_sub_co_u32 v18, s0, v8, s56
	s_wait_alu 0xfffd
	v_sub_co_ci_u32_e64 v9, null, v17, v9, vcc_lo
	v_subrev_co_ci_u32_e64 v14, null, s57, v14, vcc_lo
	s_delay_alu instid0(VALU_DEP_3) | instskip(SKIP_1) | instid1(VALU_DEP_2)
	v_cmp_le_u32_e32 vcc_lo, s56, v18
	s_wait_alu 0xf1ff
	v_subrev_co_ci_u32_e64 v14, null, 0, v14, s0
	s_wait_alu 0xfffd
	v_cndmask_b32_e64 v17, 0, -1, vcc_lo
	s_delay_alu instid0(VALU_DEP_2)
	v_cmp_le_u32_e32 vcc_lo, s57, v14
	s_wait_alu 0xfffd
	v_cndmask_b32_e64 v18, 0, -1, vcc_lo
	v_cmp_le_u32_e32 vcc_lo, s56, v8
	s_wait_alu 0xfffd
	v_cndmask_b32_e64 v8, 0, -1, vcc_lo
	;; [unrolled: 3-line block ×3, first 2 shown]
	v_cmp_eq_u32_e32 vcc_lo, s57, v14
	s_wait_alu 0xfffd
	v_cndmask_b32_e32 v14, v18, v17, vcc_lo
	v_add_co_u32 v17, vcc_lo, v12, 1
	s_wait_alu 0xfffd
	v_add_co_ci_u32_e64 v18, null, 0, v13, vcc_lo
	v_cmp_eq_u32_e32 vcc_lo, s57, v9
	s_wait_alu 0xfffd
	v_cndmask_b32_e32 v8, v19, v8, vcc_lo
	v_cmp_ne_u32_e32 vcc_lo, 0, v14
	s_delay_alu instid0(VALU_DEP_2) | instskip(SKIP_3) | instid1(VALU_DEP_1)
	v_cmp_ne_u32_e64 s0, 0, v8
	s_wait_alu 0xfffd
	v_dual_cndmask_b32 v9, v18, v16 :: v_dual_cndmask_b32 v8, v17, v15
	s_wait_alu 0xf1ff
	v_cndmask_b32_e64 v9, v13, v9, s0
	s_delay_alu instid0(VALU_DEP_2) | instskip(NEXT) | instid1(VALU_DEP_2)
	v_cndmask_b32_e64 v8, v12, v8, s0
                                        ; implicit-def: $vgpr12
	v_xor_b32_e32 v9, v9, v3
	s_delay_alu instid0(VALU_DEP_2) | instskip(NEXT) | instid1(VALU_DEP_1)
	v_xor_b32_e32 v8, v8, v3
	v_sub_co_u32 v8, vcc_lo, v8, v3
	s_wait_alu 0xfffd
	s_delay_alu instid0(VALU_DEP_3)
	v_sub_co_ci_u32_e64 v9, null, v9, v3, vcc_lo
.LBB21_20:                              ;   in Loop: Header=BB21_3 Depth=1
	s_wait_alu 0xfffe
	s_and_not1_saveexec_b32 s0, s55
	s_cbranch_execz .LBB21_22
; %bb.21:                               ;   in Loop: Header=BB21_3 Depth=1
	v_cvt_f32_u32_e32 v3, s20
	s_sub_co_i32 s2, 0, s20
	s_delay_alu instid0(VALU_DEP_1) | instskip(NEXT) | instid1(TRANS32_DEP_1)
	v_rcp_iflag_f32_e32 v3, v3
	v_mul_f32_e32 v3, 0x4f7ffffe, v3
	s_delay_alu instid0(VALU_DEP_1) | instskip(SKIP_1) | instid1(VALU_DEP_1)
	v_cvt_u32_f32_e32 v3, v3
	s_wait_alu 0xfffe
	v_mul_lo_u32 v8, s2, v3
	s_delay_alu instid0(VALU_DEP_1) | instskip(NEXT) | instid1(VALU_DEP_1)
	v_mul_hi_u32 v8, v3, v8
	v_add_nc_u32_e32 v3, v3, v8
	s_delay_alu instid0(VALU_DEP_1) | instskip(NEXT) | instid1(VALU_DEP_1)
	v_mul_hi_u32 v3, v12, v3
	v_mul_lo_u32 v8, v3, s20
	v_add_nc_u32_e32 v9, 1, v3
	s_delay_alu instid0(VALU_DEP_2) | instskip(NEXT) | instid1(VALU_DEP_1)
	v_sub_nc_u32_e32 v8, v12, v8
	v_subrev_nc_u32_e32 v12, s20, v8
	v_cmp_le_u32_e32 vcc_lo, s20, v8
	s_wait_alu 0xfffd
	s_delay_alu instid0(VALU_DEP_2) | instskip(NEXT) | instid1(VALU_DEP_1)
	v_dual_cndmask_b32 v8, v8, v12 :: v_dual_cndmask_b32 v3, v3, v9
	v_cmp_le_u32_e32 vcc_lo, s20, v8
	s_delay_alu instid0(VALU_DEP_2) | instskip(SKIP_1) | instid1(VALU_DEP_1)
	v_add_nc_u32_e32 v9, 1, v3
	s_wait_alu 0xfffd
	v_dual_cndmask_b32 v8, v3, v9 :: v_dual_mov_b32 v9, v2
.LBB21_22:                              ;   in Loop: Header=BB21_3 Depth=1
	s_wait_alu 0xfffe
	s_or_b32 exec_lo, exec_lo, s0
	s_delay_alu instid0(VALU_DEP_1)
	v_add_co_u32 v8, vcc_lo, v8, 1
	s_wait_alu 0xfffd
	v_add_co_ci_u32_e64 v9, null, 0, v9, vcc_lo
.LBB21_23:                              ;   in Loop: Header=BB21_3 Depth=1
	s_wait_alu 0xfffe
	s_or_b32 exec_lo, exec_lo, s1
	v_or_b32_e32 v3, s21, v11
                                        ; implicit-def: $vgpr12_vgpr13
	s_mov_b32 s0, exec_lo
	s_delay_alu instid0(VALU_DEP_1)
	v_cmpx_ne_u64_e32 0, v[2:3]
	s_wait_alu 0xfffe
	s_xor_b32 s1, exec_lo, s0
	s_cbranch_execnz .LBB21_26
; %bb.24:                               ;   in Loop: Header=BB21_3 Depth=1
	s_wait_alu 0xfffe
	s_and_not1_saveexec_b32 s0, s1
	s_cbranch_execnz .LBB21_27
.LBB21_25:                              ;   in Loop: Header=BB21_3 Depth=1
	s_wait_alu 0xfffe
	s_or_b32 exec_lo, exec_lo, s0
	s_delay_alu instid0(SALU_CYCLE_1)
	s_and_not1_b32 vcc_lo, exec_lo, s75
	s_wait_alu 0xfffe
	s_cbranch_vccnz .LBB21_2
	s_branch .LBB21_28
.LBB21_26:                              ;   in Loop: Header=BB21_3 Depth=1
	s_ashr_i32 s2, s21, 31
	v_ashrrev_i32_e32 v3, 31, v11
	s_wait_alu 0xfffe
	s_mov_b32 s3, s2
	s_wait_alu 0xfffe
	s_add_nc_u64 s[56:57], s[20:21], s[2:3]
	v_add_co_u32 v10, vcc_lo, v10, v3
	s_wait_alu 0xfffe
	s_xor_b64 s[56:57], s[56:57], s[2:3]
	s_wait_alu 0xfffd
	v_add_co_ci_u32_e64 v11, null, v11, v3, vcc_lo
	s_wait_alu 0xfffe
	s_cvt_f32_u32 s0, s56
	s_cvt_f32_u32 s3, s57
	s_sub_nc_u64 s[60:61], 0, s[56:57]
	v_xor_b32_e32 v16, v10, v3
	v_xor_b32_e32 v17, v11, v3
	s_wait_alu 0xfffe
	s_fmamk_f32 s0, s3, 0x4f800000, s0
	v_xor_b32_e32 v3, s2, v3
	s_wait_alu 0xfffe
	s_delay_alu instid0(SALU_CYCLE_1) | instskip(NEXT) | instid1(TRANS32_DEP_1)
	v_s_rcp_f32 s0, s0
	s_mul_f32 s0, s0, 0x5f7ffffc
	s_wait_alu 0xfffe
	s_delay_alu instid0(SALU_CYCLE_2) | instskip(SKIP_1) | instid1(SALU_CYCLE_2)
	s_mul_f32 s3, s0, 0x2f800000
	s_wait_alu 0xfffe
	s_trunc_f32 s3, s3
	s_wait_alu 0xfffe
	s_delay_alu instid0(SALU_CYCLE_2) | instskip(SKIP_2) | instid1(SALU_CYCLE_1)
	s_fmamk_f32 s0, s3, 0xcf800000, s0
	s_cvt_u32_f32 s59, s3
	s_wait_alu 0xfffe
	s_cvt_u32_f32 s58, s0
	s_wait_alu 0xfffe
	s_delay_alu instid0(SALU_CYCLE_2)
	s_mul_u64 s[62:63], s[60:61], s[58:59]
	s_wait_alu 0xfffe
	s_mul_hi_u32 s65, s58, s63
	s_mul_i32 s64, s58, s63
	s_mul_hi_u32 s34, s58, s62
	s_mul_i32 s3, s59, s62
	s_wait_alu 0xfffe
	s_add_nc_u64 s[64:65], s[34:35], s[64:65]
	s_mul_hi_u32 s0, s59, s62
	s_mul_hi_u32 s55, s59, s63
	s_add_co_u32 s3, s64, s3
	s_wait_alu 0xfffe
	s_add_co_ci_u32 s34, s65, s0
	s_mul_i32 s62, s59, s63
	s_add_co_ci_u32 s63, s55, 0
	s_wait_alu 0xfffe
	s_add_nc_u64 s[62:63], s[34:35], s[62:63]
	s_wait_alu 0xfffe
	s_add_co_u32 s58, s58, s62
	s_cselect_b32 s0, -1, 0
	s_wait_alu 0xfffe
	s_cmp_lg_u32 s0, 0
	s_add_co_ci_u32 s59, s59, s63
	s_wait_alu 0xfffe
	s_mul_u64 s[60:61], s[60:61], s[58:59]
	s_wait_alu 0xfffe
	s_mul_hi_u32 s63, s58, s61
	s_mul_i32 s62, s58, s61
	s_mul_hi_u32 s34, s58, s60
	s_mul_i32 s3, s59, s60
	s_wait_alu 0xfffe
	s_add_nc_u64 s[62:63], s[34:35], s[62:63]
	s_mul_hi_u32 s0, s59, s60
	s_mul_hi_u32 s55, s59, s61
	s_wait_alu 0xfffe
	s_add_co_u32 s3, s62, s3
	s_add_co_ci_u32 s34, s63, s0
	s_mul_i32 s60, s59, s61
	s_add_co_ci_u32 s61, s55, 0
	s_wait_alu 0xfffe
	s_add_nc_u64 s[60:61], s[34:35], s[60:61]
	s_wait_alu 0xfffe
	s_add_co_u32 s0, s58, s60
	s_cselect_b32 s3, -1, 0
	s_wait_alu 0xfffe
	v_mul_hi_u32 v18, v16, s0
	s_cmp_lg_u32 s3, 0
	v_mad_co_u64_u32 v[12:13], null, v17, s0, 0
	s_add_co_ci_u32 s3, s59, s61
	s_wait_alu 0xfffe
	v_mad_co_u64_u32 v[10:11], null, v16, s3, 0
	v_mad_co_u64_u32 v[14:15], null, v17, s3, 0
	s_delay_alu instid0(VALU_DEP_2) | instskip(SKIP_1) | instid1(VALU_DEP_3)
	v_add_co_u32 v10, vcc_lo, v18, v10
	s_wait_alu 0xfffd
	v_add_co_ci_u32_e64 v11, null, 0, v11, vcc_lo
	s_delay_alu instid0(VALU_DEP_2) | instskip(SKIP_1) | instid1(VALU_DEP_2)
	v_add_co_u32 v10, vcc_lo, v10, v12
	s_wait_alu 0xfffd
	v_add_co_ci_u32_e32 v10, vcc_lo, v11, v13, vcc_lo
	s_wait_alu 0xfffd
	v_add_co_ci_u32_e32 v11, vcc_lo, 0, v15, vcc_lo
	s_delay_alu instid0(VALU_DEP_2) | instskip(SKIP_1) | instid1(VALU_DEP_2)
	v_add_co_u32 v12, vcc_lo, v10, v14
	s_wait_alu 0xfffd
	v_add_co_ci_u32_e64 v13, null, 0, v11, vcc_lo
	s_delay_alu instid0(VALU_DEP_2) | instskip(SKIP_1) | instid1(VALU_DEP_3)
	v_mul_lo_u32 v14, s57, v12
	v_mad_co_u64_u32 v[10:11], null, s56, v12, 0
	v_mul_lo_u32 v15, s56, v13
	s_delay_alu instid0(VALU_DEP_2) | instskip(NEXT) | instid1(VALU_DEP_2)
	v_sub_co_u32 v10, vcc_lo, v16, v10
	v_add3_u32 v11, v11, v15, v14
	v_add_co_u32 v15, s0, v12, 2
	s_wait_alu 0xf1ff
	v_add_co_ci_u32_e64 v16, null, 0, v13, s0
	s_delay_alu instid0(VALU_DEP_3) | instskip(SKIP_3) | instid1(VALU_DEP_3)
	v_sub_nc_u32_e32 v14, v17, v11
	v_sub_co_u32 v18, s0, v10, s56
	s_wait_alu 0xfffd
	v_sub_co_ci_u32_e64 v11, null, v17, v11, vcc_lo
	v_subrev_co_ci_u32_e64 v14, null, s57, v14, vcc_lo
	s_delay_alu instid0(VALU_DEP_3) | instskip(SKIP_1) | instid1(VALU_DEP_2)
	v_cmp_le_u32_e32 vcc_lo, s56, v18
	s_wait_alu 0xf1ff
	v_subrev_co_ci_u32_e64 v14, null, 0, v14, s0
	s_wait_alu 0xfffd
	v_cndmask_b32_e64 v17, 0, -1, vcc_lo
	s_delay_alu instid0(VALU_DEP_2)
	v_cmp_le_u32_e32 vcc_lo, s57, v14
	s_wait_alu 0xfffd
	v_cndmask_b32_e64 v18, 0, -1, vcc_lo
	v_cmp_le_u32_e32 vcc_lo, s56, v10
	s_wait_alu 0xfffd
	v_cndmask_b32_e64 v10, 0, -1, vcc_lo
	;; [unrolled: 3-line block ×3, first 2 shown]
	v_cmp_eq_u32_e32 vcc_lo, s57, v14
	s_wait_alu 0xfffd
	v_cndmask_b32_e32 v14, v18, v17, vcc_lo
	v_add_co_u32 v17, vcc_lo, v12, 1
	s_wait_alu 0xfffd
	v_add_co_ci_u32_e64 v18, null, 0, v13, vcc_lo
	v_cmp_eq_u32_e32 vcc_lo, s57, v11
	s_wait_alu 0xfffd
	v_cndmask_b32_e32 v10, v19, v10, vcc_lo
	v_cmp_ne_u32_e32 vcc_lo, 0, v14
	s_wait_alu 0xfffd
	v_cndmask_b32_e32 v11, v18, v16, vcc_lo
	s_delay_alu instid0(VALU_DEP_3) | instskip(SKIP_2) | instid1(VALU_DEP_2)
	v_cmp_ne_u32_e64 s0, 0, v10
	v_cndmask_b32_e32 v10, v17, v15, vcc_lo
	s_wait_alu 0xf1ff
	v_cndmask_b32_e64 v11, v13, v11, s0
	s_delay_alu instid0(VALU_DEP_2) | instskip(NEXT) | instid1(VALU_DEP_2)
	v_cndmask_b32_e64 v10, v12, v10, s0
	v_xor_b32_e32 v11, v11, v3
	s_delay_alu instid0(VALU_DEP_2) | instskip(NEXT) | instid1(VALU_DEP_1)
	v_xor_b32_e32 v10, v10, v3
	v_sub_co_u32 v12, vcc_lo, v10, v3
	s_wait_alu 0xfffd
	s_delay_alu instid0(VALU_DEP_3)
	v_sub_co_ci_u32_e64 v13, null, v11, v3, vcc_lo
                                        ; implicit-def: $vgpr10
	s_and_not1_saveexec_b32 s0, s1
	s_cbranch_execz .LBB21_25
.LBB21_27:                              ;   in Loop: Header=BB21_3 Depth=1
	v_cvt_f32_u32_e32 v3, s20
	s_sub_co_i32 s1, 0, s20
	v_mov_b32_e32 v13, v2
	s_delay_alu instid0(VALU_DEP_2) | instskip(NEXT) | instid1(TRANS32_DEP_1)
	v_rcp_iflag_f32_e32 v3, v3
	v_mul_f32_e32 v3, 0x4f7ffffe, v3
	s_delay_alu instid0(VALU_DEP_1) | instskip(SKIP_1) | instid1(VALU_DEP_1)
	v_cvt_u32_f32_e32 v3, v3
	s_wait_alu 0xfffe
	v_mul_lo_u32 v11, s1, v3
	s_delay_alu instid0(VALU_DEP_1) | instskip(NEXT) | instid1(VALU_DEP_1)
	v_mul_hi_u32 v11, v3, v11
	v_add_nc_u32_e32 v3, v3, v11
	s_delay_alu instid0(VALU_DEP_1) | instskip(NEXT) | instid1(VALU_DEP_1)
	v_mul_hi_u32 v3, v10, v3
	v_mul_lo_u32 v11, v3, s20
	s_delay_alu instid0(VALU_DEP_1) | instskip(SKIP_1) | instid1(VALU_DEP_2)
	v_sub_nc_u32_e32 v10, v10, v11
	v_add_nc_u32_e32 v11, 1, v3
	v_subrev_nc_u32_e32 v12, s20, v10
	v_cmp_le_u32_e32 vcc_lo, s20, v10
	s_wait_alu 0xfffd
	s_delay_alu instid0(VALU_DEP_2) | instskip(NEXT) | instid1(VALU_DEP_1)
	v_dual_cndmask_b32 v10, v10, v12 :: v_dual_cndmask_b32 v3, v3, v11
	v_cmp_le_u32_e32 vcc_lo, s20, v10
	s_delay_alu instid0(VALU_DEP_2) | instskip(SKIP_1) | instid1(VALU_DEP_1)
	v_add_nc_u32_e32 v11, 1, v3
	s_wait_alu 0xfffd
	v_cndmask_b32_e32 v12, v3, v11, vcc_lo
	s_or_b32 exec_lo, exec_lo, s0
	s_delay_alu instid0(SALU_CYCLE_1)
	s_and_not1_b32 vcc_lo, exec_lo, s75
	s_wait_alu 0xfffe
	s_cbranch_vccnz .LBB21_2
.LBB21_28:                              ;   in Loop: Header=BB21_3 Depth=1
	v_add_co_u32 v3, s0, s26, v4
	s_wait_alu 0xf1ff
	v_add_co_ci_u32_e64 v14, null, s27, v5, s0
	v_add_co_u32 v10, vcc_lo, v12, 1
	v_add_co_u32 v12, s0, v6, 1
	s_delay_alu instid0(VALU_DEP_3)
	v_mul_lo_u32 v18, s18, v14
	v_mul_lo_u32 v19, s19, v3
	v_mad_co_u64_u32 v[14:15], null, s18, v3, v[8:9]
	s_wait_alu 0xfffd
	v_add_co_ci_u32_e64 v11, null, 0, v13, vcc_lo
	s_wait_alu 0xf1ff
	v_add_co_ci_u32_e64 v13, null, 0, v7, s0
	s_load_b32 s56, s[28:29], 0x4
	v_cmp_gt_i64_e32 vcc_lo, s[18:19], v[10:11]
	v_add3_u32 v15, v19, v15, v18
	v_cmp_gt_i64_e64 s0, s[16:17], v[12:13]
	v_lshlrev_b64_e32 v[16:17], 2, v[0:1]
	s_mov_b32 s57, s35
	s_mov_b64 s[62:63], s[38:39]
	s_wait_alu 0xfffd
	v_cndmask_b32_e32 v7, s19, v11, vcc_lo
	v_cndmask_b32_e32 v6, s18, v10, vcc_lo
	v_cndmask_b32_e64 v11, s17, v13, s0
	v_cndmask_b32_e64 v10, s16, v12, s0
	v_lshlrev_b64_e32 v[12:13], 3, v[14:15]
	v_lshlrev_b64_e32 v[14:15], 2, v[14:15]
	v_add_co_u32 v3, vcc_lo, s30, v16
	s_wait_alu 0xfffd
	v_add_co_ci_u32_e64 v34, null, s31, v17, vcc_lo
	s_delay_alu instid0(VALU_DEP_4)
	v_add_co_u32 v12, vcc_lo, s6, v12
	s_wait_alu 0xfffd
	v_add_co_ci_u32_e64 v13, null, s7, v13, vcc_lo
	v_add_co_u32 v14, vcc_lo, s4, v14
	v_cmp_lt_i64_e64 s0, v[4:5], v[10:11]
	v_cmp_lt_i64_e64 s1, v[8:9], v[6:7]
	s_wait_alu 0xfffd
	v_add_co_ci_u32_e64 v15, null, s5, v15, vcc_lo
	s_wait_kmcnt 0x0
	s_wait_alu 0xfffe
	s_mul_u64 s[58:59], s[42:43], s[56:57]
	s_mul_u64 s[60:61], s[48:49], s[56:57]
	s_branch .LBB21_30
.LBB21_29:                              ;   in Loop: Header=BB21_30 Depth=2
	s_add_nc_u64 s[62:63], s[62:63], s[56:57]
	v_add_co_u32 v12, vcc_lo, v12, s58
	s_wait_alu 0xfffe
	v_cmp_ge_i64_e64 s2, s[62:63], s[8:9]
	s_wait_alu 0xfffd
	v_add_co_ci_u32_e64 v13, null, s59, v13, vcc_lo
	v_add_co_u32 v14, vcc_lo, v14, s60
	s_wait_alu 0xfffd
	v_add_co_ci_u32_e64 v15, null, s61, v15, vcc_lo
	s_and_b32 vcc_lo, exec_lo, s2
	s_wait_alu 0xfffe
	s_cbranch_vccnz .LBB21_2
.LBB21_30:                              ;   Parent Loop BB21_3 Depth=1
                                        ; =>  This Loop Header: Depth=2
                                        ;       Child Loop BB21_34 Depth 3
                                        ;         Child Loop BB21_38 Depth 4
                                        ;           Child Loop BB21_41 Depth 5
	s_and_not1_b32 vcc_lo, exec_lo, s76
	s_wait_alu 0xfffe
	s_cbranch_vccnz .LBB21_29
; %bb.31:                               ;   in Loop: Header=BB21_30 Depth=2
	s_load_b32 s34, s[28:29], 0x8
	v_dual_mov_b32 v17, v15 :: v_dual_mov_b32 v16, v14
	v_dual_mov_b32 v19, v13 :: v_dual_mov_b32 v18, v12
	s_mul_u64 s[64:65], s[62:63], s[10:11]
	s_mov_b64 s[70:71], s[36:37]
	s_wait_kmcnt 0x0
	s_mul_u64 s[66:67], s[44:45], s[34:35]
	s_mul_u64 s[68:69], s[50:51], s[34:35]
	s_branch .LBB21_34
.LBB21_32:                              ;   in Loop: Header=BB21_34 Depth=3
	s_or_b32 exec_lo, exec_lo, s55
.LBB21_33:                              ;   in Loop: Header=BB21_34 Depth=3
	s_wait_alu 0xfffe
	s_or_b32 exec_lo, exec_lo, s3
	s_add_nc_u64 s[2:3], s[70:71], s[64:65]
	s_add_nc_u64 s[70:71], s[70:71], s[34:35]
	s_wait_alu 0xfffe
	s_mul_u64 s[2:3], s[12:13], s[2:3]
	s_wait_alu 0xfffe
	s_lshl_b64 s[2:3], s[2:3], 2
	s_wait_alu 0xfffe
	v_add_co_u32 v20, vcc_lo, v3, s2
	s_wait_alu 0xfffd
	v_add_co_ci_u32_e64 v21, null, s3, v34, vcc_lo
	v_add_co_u32 v18, vcc_lo, v18, s66
	v_cmp_ge_i64_e64 s2, s[70:71], s[10:11]
	s_wait_alu 0xfffd
	v_add_co_ci_u32_e64 v19, null, s67, v19, vcc_lo
	v_add_co_u32 v16, vcc_lo, v16, s68
	s_wait_alu 0xfffd
	v_add_co_ci_u32_e64 v17, null, s69, v17, vcc_lo
	s_and_b32 vcc_lo, exec_lo, s2
	global_store_b32 v[20:21], v35, off
	s_wait_alu 0xfffe
	s_cbranch_vccnz .LBB21_29
.LBB21_34:                              ;   Parent Loop BB21_3 Depth=1
                                        ;     Parent Loop BB21_30 Depth=2
                                        ; =>    This Loop Header: Depth=3
                                        ;         Child Loop BB21_38 Depth 4
                                        ;           Child Loop BB21_41 Depth 5
	v_mov_b32_e32 v35, 0
	s_and_saveexec_b32 s3, s0
	s_cbranch_execz .LBB21_33
; %bb.35:                               ;   in Loop: Header=BB21_34 Depth=3
	v_mov_b32_e32 v21, v17
	v_mov_b32_e32 v23, v19
	;; [unrolled: 1-line block ×3, first 2 shown]
	v_dual_mov_b32 v35, 0 :: v_dual_mov_b32 v20, v16
	v_mov_b32_e32 v22, v18
	v_mov_b32_e32 v24, v4
	s_mov_b32 s55, 0
	s_branch .LBB21_38
.LBB21_36:                              ;   in Loop: Header=BB21_38 Depth=4
	s_or_b32 exec_lo, exec_lo, s80
.LBB21_37:                              ;   in Loop: Header=BB21_38 Depth=4
	s_delay_alu instid0(SALU_CYCLE_1)
	s_or_b32 exec_lo, exec_lo, s79
	v_add_co_u32 v24, vcc_lo, v24, 1
	s_wait_alu 0xfffd
	v_add_co_ci_u32_e64 v25, null, 0, v25, vcc_lo
	v_add_co_u32 v22, vcc_lo, v22, s46
	s_wait_alu 0xfffd
	v_add_co_ci_u32_e64 v23, null, s47, v23, vcc_lo
	s_delay_alu instid0(VALU_DEP_3)
	v_cmp_ge_i64_e32 vcc_lo, v[24:25], v[10:11]
	v_add_co_u32 v20, s2, v20, s52
	s_wait_alu 0xf1ff
	v_add_co_ci_u32_e64 v21, null, s53, v21, s2
	s_wait_alu 0xfffe
	s_or_b32 s55, vcc_lo, s55
	s_wait_alu 0xfffe
	s_and_not1_b32 exec_lo, exec_lo, s55
	s_cbranch_execz .LBB21_32
.LBB21_38:                              ;   Parent Loop BB21_3 Depth=1
                                        ;     Parent Loop BB21_30 Depth=2
                                        ;       Parent Loop BB21_34 Depth=3
                                        ; =>      This Loop Header: Depth=4
                                        ;           Child Loop BB21_41 Depth 5
	s_and_saveexec_b32 s79, s1
	s_cbranch_execz .LBB21_37
; %bb.39:                               ;   in Loop: Header=BB21_38 Depth=4
	v_dual_mov_b32 v27, v21 :: v_dual_mov_b32 v26, v20
	v_dual_mov_b32 v29, v23 :: v_dual_mov_b32 v28, v22
	;; [unrolled: 1-line block ×3, first 2 shown]
	s_mov_b32 s80, 0
	s_branch .LBB21_41
.LBB21_40:                              ;   in Loop: Header=BB21_41 Depth=5
	s_wait_alu 0xfffe
	s_or_b32 exec_lo, exec_lo, s2
	v_add_co_u32 v30, vcc_lo, v30, 1
	s_wait_alu 0xfffd
	v_add_co_ci_u32_e64 v31, null, 0, v31, vcc_lo
	v_add_co_u32 v28, vcc_lo, v28, 8
	s_wait_alu 0xfffd
	v_add_co_ci_u32_e64 v29, null, 0, v29, vcc_lo
	s_delay_alu instid0(VALU_DEP_3) | instskip(SKIP_4) | instid1(SALU_CYCLE_1)
	v_cmp_ge_i64_e32 vcc_lo, v[30:31], v[6:7]
	v_add_co_u32 v26, s2, v26, 4
	s_wait_alu 0xf1ff
	v_add_co_ci_u32_e64 v27, null, 0, v27, s2
	s_or_b32 s80, vcc_lo, s80
	s_and_not1_b32 exec_lo, exec_lo, s80
	s_cbranch_execz .LBB21_36
.LBB21_41:                              ;   Parent Loop BB21_3 Depth=1
                                        ;     Parent Loop BB21_30 Depth=2
                                        ;       Parent Loop BB21_34 Depth=3
                                        ;         Parent Loop BB21_38 Depth=4
                                        ; =>        This Inner Loop Header: Depth=5
	global_load_b64 v[36:37], v[28:29], off
	s_mov_b32 s2, exec_lo
	s_wait_loadcnt 0x0
	v_cmpx_eq_u64_e64 v[36:37], v[0:1]
	s_cbranch_execz .LBB21_40
; %bb.42:                               ;   in Loop: Header=BB21_41 Depth=5
	global_load_b32 v36, v[26:27], off
	s_wait_loadcnt 0x0
	v_add_f32_e32 v35, v35, v36
	s_branch .LBB21_40
.LBB21_43:
	s_endpgm
	.section	.rodata,"a",@progbits
	.p2align	6, 0x0
	.amdhsa_kernel _ZN2at6native12_GLOBAL__N_122max_pool_backward_nchwIfflEEvPKT_PKlT1_S8_S8_S8_S8_S8_iiiiiiiiPS3_
		.amdhsa_group_segment_fixed_size 0
		.amdhsa_private_segment_fixed_size 0
		.amdhsa_kernarg_size 360
		.amdhsa_user_sgpr_count 2
		.amdhsa_user_sgpr_dispatch_ptr 0
		.amdhsa_user_sgpr_queue_ptr 0
		.amdhsa_user_sgpr_kernarg_segment_ptr 1
		.amdhsa_user_sgpr_dispatch_id 0
		.amdhsa_user_sgpr_private_segment_size 0
		.amdhsa_wavefront_size32 1
		.amdhsa_uses_dynamic_stack 0
		.amdhsa_enable_private_segment 0
		.amdhsa_system_sgpr_workgroup_id_x 1
		.amdhsa_system_sgpr_workgroup_id_y 1
		.amdhsa_system_sgpr_workgroup_id_z 1
		.amdhsa_system_sgpr_workgroup_info 0
		.amdhsa_system_vgpr_workitem_id 0
		.amdhsa_next_free_vgpr 38
		.amdhsa_next_free_sgpr 81
		.amdhsa_reserve_vcc 1
		.amdhsa_float_round_mode_32 0
		.amdhsa_float_round_mode_16_64 0
		.amdhsa_float_denorm_mode_32 3
		.amdhsa_float_denorm_mode_16_64 3
		.amdhsa_fp16_overflow 0
		.amdhsa_workgroup_processor_mode 1
		.amdhsa_memory_ordered 1
		.amdhsa_forward_progress 1
		.amdhsa_inst_pref_size 50
		.amdhsa_round_robin_scheduling 0
		.amdhsa_exception_fp_ieee_invalid_op 0
		.amdhsa_exception_fp_denorm_src 0
		.amdhsa_exception_fp_ieee_div_zero 0
		.amdhsa_exception_fp_ieee_overflow 0
		.amdhsa_exception_fp_ieee_underflow 0
		.amdhsa_exception_fp_ieee_inexact 0
		.amdhsa_exception_int_div_zero 0
	.end_amdhsa_kernel
	.section	.text._ZN2at6native12_GLOBAL__N_122max_pool_backward_nchwIfflEEvPKT_PKlT1_S8_S8_S8_S8_S8_iiiiiiiiPS3_,"axG",@progbits,_ZN2at6native12_GLOBAL__N_122max_pool_backward_nchwIfflEEvPKT_PKlT1_S8_S8_S8_S8_S8_iiiiiiiiPS3_,comdat
.Lfunc_end21:
	.size	_ZN2at6native12_GLOBAL__N_122max_pool_backward_nchwIfflEEvPKT_PKlT1_S8_S8_S8_S8_S8_iiiiiiiiPS3_, .Lfunc_end21-_ZN2at6native12_GLOBAL__N_122max_pool_backward_nchwIfflEEvPKT_PKlT1_S8_S8_S8_S8_S8_iiiiiiiiPS3_
                                        ; -- End function
	.set _ZN2at6native12_GLOBAL__N_122max_pool_backward_nchwIfflEEvPKT_PKlT1_S8_S8_S8_S8_S8_iiiiiiiiPS3_.num_vgpr, 38
	.set _ZN2at6native12_GLOBAL__N_122max_pool_backward_nchwIfflEEvPKT_PKlT1_S8_S8_S8_S8_S8_iiiiiiiiPS3_.num_agpr, 0
	.set _ZN2at6native12_GLOBAL__N_122max_pool_backward_nchwIfflEEvPKT_PKlT1_S8_S8_S8_S8_S8_iiiiiiiiPS3_.numbered_sgpr, 81
	.set _ZN2at6native12_GLOBAL__N_122max_pool_backward_nchwIfflEEvPKT_PKlT1_S8_S8_S8_S8_S8_iiiiiiiiPS3_.num_named_barrier, 0
	.set _ZN2at6native12_GLOBAL__N_122max_pool_backward_nchwIfflEEvPKT_PKlT1_S8_S8_S8_S8_S8_iiiiiiiiPS3_.private_seg_size, 0
	.set _ZN2at6native12_GLOBAL__N_122max_pool_backward_nchwIfflEEvPKT_PKlT1_S8_S8_S8_S8_S8_iiiiiiiiPS3_.uses_vcc, 1
	.set _ZN2at6native12_GLOBAL__N_122max_pool_backward_nchwIfflEEvPKT_PKlT1_S8_S8_S8_S8_S8_iiiiiiiiPS3_.uses_flat_scratch, 0
	.set _ZN2at6native12_GLOBAL__N_122max_pool_backward_nchwIfflEEvPKT_PKlT1_S8_S8_S8_S8_S8_iiiiiiiiPS3_.has_dyn_sized_stack, 0
	.set _ZN2at6native12_GLOBAL__N_122max_pool_backward_nchwIfflEEvPKT_PKlT1_S8_S8_S8_S8_S8_iiiiiiiiPS3_.has_recursion, 0
	.set _ZN2at6native12_GLOBAL__N_122max_pool_backward_nchwIfflEEvPKT_PKlT1_S8_S8_S8_S8_S8_iiiiiiiiPS3_.has_indirect_call, 0
	.section	.AMDGPU.csdata,"",@progbits
; Kernel info:
; codeLenInByte = 6360
; TotalNumSgprs: 83
; NumVgprs: 38
; ScratchSize: 0
; MemoryBound: 0
; FloatMode: 240
; IeeeMode: 1
; LDSByteSize: 0 bytes/workgroup (compile time only)
; SGPRBlocks: 0
; VGPRBlocks: 4
; NumSGPRsForWavesPerEU: 83
; NumVGPRsForWavesPerEU: 38
; Occupancy: 16
; WaveLimiterHint : 0
; COMPUTE_PGM_RSRC2:SCRATCH_EN: 0
; COMPUTE_PGM_RSRC2:USER_SGPR: 2
; COMPUTE_PGM_RSRC2:TRAP_HANDLER: 0
; COMPUTE_PGM_RSRC2:TGID_X_EN: 1
; COMPUTE_PGM_RSRC2:TGID_Y_EN: 1
; COMPUTE_PGM_RSRC2:TGID_Z_EN: 1
; COMPUTE_PGM_RSRC2:TIDIG_COMP_CNT: 0
	.section	.text._ZN2at6native12_GLOBAL__N_122max_pool_backward_nhwcIN3c104HalfEfEEvPKT_PKlillliiiiiiiiiiiiiiiPS5_,"axG",@progbits,_ZN2at6native12_GLOBAL__N_122max_pool_backward_nhwcIN3c104HalfEfEEvPKT_PKlillliiiiiiiiiiiiiiiPS5_,comdat
	.globl	_ZN2at6native12_GLOBAL__N_122max_pool_backward_nhwcIN3c104HalfEfEEvPKT_PKlillliiiiiiiiiiiiiiiPS5_ ; -- Begin function _ZN2at6native12_GLOBAL__N_122max_pool_backward_nhwcIN3c104HalfEfEEvPKT_PKlillliiiiiiiiiiiiiiiPS5_
	.p2align	8
	.type	_ZN2at6native12_GLOBAL__N_122max_pool_backward_nhwcIN3c104HalfEfEEvPKT_PKlillliiiiiiiiiiiiiiiPS5_,@function
_ZN2at6native12_GLOBAL__N_122max_pool_backward_nhwcIN3c104HalfEfEEvPKT_PKlillliiiiiiiiiiiiiiiPS5_: ; @_ZN2at6native12_GLOBAL__N_122max_pool_backward_nhwcIN3c104HalfEfEEvPKT_PKlillliiiiiiiiiiiiiiiPS5_
; %bb.0:
	s_clause 0x3
	s_load_b32 s37, s[0:1], 0x10
	s_load_b128 s[24:27], s[0:1], 0x7c
	s_load_b256 s[4:11], s[0:1], 0x50
	s_load_b256 s[12:19], s[0:1], 0x30
	v_bfe_u32 v2, v0, 10, 10
	v_bfe_u32 v1, v0, 20, 10
	v_and_b32_e32 v4, 0x3ff, v0
	s_mov_b32 s2, ttmp9
	s_mov_b32 s23, exec_lo
	s_wait_kmcnt 0x0
	s_cvt_f32_u32 s3, s37
	s_lshr_b32 s11, s26, 16
	s_and_b32 s36, s26, 0xffff
	v_mad_u32_u24 v7, v1, s11, v2
	v_rcp_iflag_f32_e32 v3, s3
	s_mul_i32 s20, s10, s36
	s_and_b32 s33, s27, 0xffff
	s_mul_i32 s22, s20, s11
	v_mad_co_u64_u32 v[5:6], null, v7, s36, v[4:5]
	s_mul_i32 s22, s22, s33
	s_delay_alu instid0(TRANS32_DEP_1) | instskip(SKIP_2) | instid1(SALU_CYCLE_2)
	v_readfirstlane_b32 s3, v3
	s_mul_f32 s3, s3, 0x4f7ffffe
	s_wait_alu 0xfffe
	s_cvt_u32_f32 s21, s3
	s_sub_co_i32 s3, 0, s37
	s_wait_alu 0xfffe
	s_delay_alu instid0(SALU_CYCLE_1)
	s_mul_i32 s3, s3, s21
	s_wait_alu 0xfffe
	s_mul_hi_u32 s20, s21, s3
	s_mov_b32 s3, 0
	s_add_co_i32 s20, s21, s20
	s_wait_alu 0xfffe
	s_mov_b32 s21, s3
	v_cmpx_gt_u32_e64 s22, v5
	s_cbranch_execz .LBB22_3
; %bb.1:
	s_mul_i32 s26, s11, s36
	v_lshl_add_u32 v0, v5, 2, 0
	v_mov_b32_e32 v3, 0
	s_mul_i32 s26, s26, s33
	s_mov_b32 s28, s3
	s_lshl_b32 s27, s26, 2
.LBB22_2:                               ; =>This Inner Loop Header: Depth=1
	v_add_nc_u32_e32 v5, s26, v5
	ds_store_b32 v0, v3
	v_add_nc_u32_e32 v0, s27, v0
	v_cmp_le_u32_e32 vcc_lo, s22, v5
	s_or_b32 s28, vcc_lo, s28
	s_delay_alu instid0(SALU_CYCLE_1)
	s_and_not1_b32 exec_lo, exec_lo, s28
	s_cbranch_execnz .LBB22_2
.LBB22_3:
	s_or_b32 exec_lo, exec_lo, s23
	s_mul_u64 s[2:3], s[2:3], s[20:21]
	s_clause 0x1
	s_load_b128 s[20:23], s[0:1], 0x18
	s_load_b64 s[28:29], s[0:1], 0x28
	s_mov_b32 s31, 0
	s_mov_b32 s30, s25
	s_wait_dscnt 0x0
	s_barrier_signal -1
	s_barrier_wait -1
	global_inv scope:SCOPE_SE
	s_wait_kmcnt 0x0
	s_add_nc_u64 s[26:27], s[22:23], s[30:31]
	s_wait_alu 0xfffe
	s_add_nc_u64 s[34:35], s[26:27], -1
	s_mov_b32 s26, s31
	s_mov_b32 s27, s35
	s_wait_alu 0xfffe
	s_cmp_lg_u64 s[26:27], 0
	s_cbranch_scc0 .LBB22_60
; %bb.4:
	s_add_nc_u64 s[26:27], s[30:31], 0
	s_mov_b32 s43, s31
	s_wait_alu 0xfffe
	s_xor_b64 s[26:27], s[26:27], 0
	s_mov_b32 s47, s31
	s_wait_alu 0xfffe
	s_cvt_f32_u32 s2, s26
	s_cvt_f32_u32 s25, s27
	s_sub_nc_u64 s[40:41], 0, s[26:27]
	s_wait_alu 0xfffe
	s_delay_alu instid0(SALU_CYCLE_1) | instskip(SKIP_1) | instid1(SALU_CYCLE_2)
	s_fmamk_f32 s2, s25, 0x4f800000, s2
	s_wait_alu 0xfffe
	v_s_rcp_f32 s2, s2
	s_delay_alu instid0(TRANS32_DEP_1) | instskip(SKIP_1) | instid1(SALU_CYCLE_2)
	s_mul_f32 s2, s2, 0x5f7ffffc
	s_wait_alu 0xfffe
	s_mul_f32 s25, s2, 0x2f800000
	s_delay_alu instid0(SALU_CYCLE_3) | instskip(NEXT) | instid1(SALU_CYCLE_3)
	s_trunc_f32 s25, s25
	s_fmamk_f32 s2, s25, 0xcf800000, s2
	s_cvt_u32_f32 s39, s25
	s_wait_alu 0xfffe
	s_delay_alu instid0(SALU_CYCLE_1) | instskip(NEXT) | instid1(SALU_CYCLE_3)
	s_cvt_u32_f32 s38, s2
	s_mul_u64 s[44:45], s[40:41], s[38:39]
	s_delay_alu instid0(SALU_CYCLE_1)
	s_mul_hi_u32 s49, s38, s45
	s_mul_i32 s48, s38, s45
	s_mul_hi_u32 s42, s38, s44
	s_mul_i32 s25, s39, s44
	s_add_nc_u64 s[42:43], s[42:43], s[48:49]
	s_mul_hi_u32 s2, s39, s44
	s_mul_hi_u32 s50, s39, s45
	s_add_co_u32 s25, s42, s25
	s_wait_alu 0xfffe
	s_add_co_ci_u32 s46, s43, s2
	s_mul_i32 s44, s39, s45
	s_add_co_ci_u32 s45, s50, 0
	s_delay_alu instid0(SALU_CYCLE_1)
	s_add_nc_u64 s[42:43], s[46:47], s[44:45]
	s_mov_b32 s45, s31
	s_add_co_u32 s38, s38, s42
	s_cselect_b32 s2, -1, 0
	s_wait_alu 0xfffe
	s_cmp_lg_u32 s2, 0
	s_add_co_ci_u32 s39, s39, s43
	s_mov_b32 s43, s31
	s_mul_u64 s[40:41], s[40:41], s[38:39]
	s_delay_alu instid0(SALU_CYCLE_1)
	s_mul_hi_u32 s47, s38, s41
	s_mul_i32 s46, s38, s41
	s_mul_hi_u32 s42, s38, s40
	s_mul_i32 s25, s39, s40
	s_add_nc_u64 s[42:43], s[42:43], s[46:47]
	s_mul_hi_u32 s2, s39, s40
	s_mul_hi_u32 s48, s39, s41
	s_add_co_u32 s25, s42, s25
	s_wait_alu 0xfffe
	s_add_co_ci_u32 s44, s43, s2
	s_mul_i32 s40, s39, s41
	s_add_co_ci_u32 s41, s48, 0
	s_mov_b32 s43, s31
	s_add_nc_u64 s[40:41], s[44:45], s[40:41]
	s_delay_alu instid0(SALU_CYCLE_1) | instskip(SKIP_1) | instid1(SALU_CYCLE_1)
	s_add_co_u32 s2, s38, s40
	s_cselect_b32 s25, -1, 0
	s_cmp_lg_u32 s25, 0
	s_add_co_ci_u32 s25, s39, s41
	s_ashr_i32 s38, s35, 31
	s_delay_alu instid0(SALU_CYCLE_1) | instskip(NEXT) | instid1(SALU_CYCLE_1)
	s_mov_b32 s39, s38
	s_add_nc_u64 s[40:41], s[34:35], s[38:39]
	s_delay_alu instid0(SALU_CYCLE_1) | instskip(NEXT) | instid1(SALU_CYCLE_1)
	s_xor_b64 s[40:41], s[40:41], s[38:39]
	s_mul_hi_u32 s47, s40, s25
	s_mul_i32 s46, s40, s25
	s_wait_alu 0xfffe
	s_mul_hi_u32 s42, s40, s2
	s_mul_hi_u32 s44, s41, s2
	s_mul_i32 s2, s41, s2
	s_add_nc_u64 s[42:43], s[42:43], s[46:47]
	s_mul_hi_u32 s35, s41, s25
	s_wait_alu 0xfffe
	s_add_co_u32 s2, s42, s2
	s_add_co_ci_u32 s44, s43, s44
	s_mul_i32 s46, s41, s25
	s_add_co_ci_u32 s47, s35, 0
	s_delay_alu instid0(SALU_CYCLE_1) | instskip(NEXT) | instid1(SALU_CYCLE_1)
	s_add_nc_u64 s[42:43], s[44:45], s[46:47]
	s_mul_u64 s[44:45], s[26:27], s[42:43]
	s_add_nc_u64 s[46:47], s[42:43], 1
	s_sub_co_u32 s2, s40, s44
	s_cselect_b32 s25, -1, 0
	s_sub_co_i32 s35, s41, s45
	s_cmp_lg_u32 s25, 0
	s_add_nc_u64 s[48:49], s[42:43], 2
	s_sub_co_ci_u32 s35, s35, s27
	s_wait_alu 0xfffe
	s_sub_co_u32 s40, s2, s26
	s_cselect_b32 s44, -1, 0
	s_delay_alu instid0(SALU_CYCLE_1) | instskip(SKIP_1) | instid1(SALU_CYCLE_1)
	s_cmp_lg_u32 s44, 0
	s_sub_co_ci_u32 s35, s35, 0
	s_cmp_ge_u32 s35, s27
	s_cselect_b32 s44, -1, 0
	s_cmp_ge_u32 s40, s26
	s_cselect_b32 s40, -1, 0
	s_cmp_eq_u32 s35, s27
	s_cselect_b32 s35, s40, s44
	s_delay_alu instid0(SALU_CYCLE_1) | instskip(SKIP_4) | instid1(SALU_CYCLE_1)
	s_cmp_lg_u32 s35, 0
	s_cselect_b32 s35, s48, s46
	s_cselect_b32 s40, s49, s47
	s_cmp_lg_u32 s25, 0
	s_sub_co_ci_u32 s25, s41, s45
	s_cmp_ge_u32 s25, s27
	s_cselect_b32 s41, -1, 0
	s_cmp_ge_u32 s2, s26
	s_cselect_b32 s2, -1, 0
	s_cmp_eq_u32 s25, s27
	s_wait_alu 0xfffe
	s_cselect_b32 s2, s2, s41
	s_wait_alu 0xfffe
	s_cmp_lg_u32 s2, 0
	s_cselect_b32 s27, s40, s43
	s_cselect_b32 s26, s35, s42
	s_xor_b64 s[38:39], s[38:39], 0
	s_wait_alu 0xfffe
	s_xor_b64 s[26:27], s[26:27], s[38:39]
	s_wait_alu 0xfffe
	s_sub_nc_u64 s[26:27], s[26:27], s[38:39]
	s_and_not1_b32 vcc_lo, exec_lo, s31
	s_cbranch_vccnz .LBB22_6
.LBB22_5:
	v_cvt_f32_u32_e32 v0, s30
	s_sub_co_i32 s25, 0, s30
	s_delay_alu instid0(VALU_DEP_1) | instskip(NEXT) | instid1(TRANS32_DEP_1)
	v_rcp_iflag_f32_e32 v0, v0
	v_mul_f32_e32 v0, 0x4f7ffffe, v0
	s_delay_alu instid0(VALU_DEP_1) | instskip(NEXT) | instid1(VALU_DEP_1)
	v_cvt_u32_f32_e32 v0, v0
	v_readfirstlane_b32 s2, v0
	s_mul_i32 s25, s25, s2
	s_delay_alu instid0(SALU_CYCLE_1) | instskip(NEXT) | instid1(SALU_CYCLE_1)
	s_mul_hi_u32 s25, s2, s25
	s_add_co_i32 s2, s2, s25
	s_wait_alu 0xfffe
	s_mul_hi_u32 s2, s34, s2
	s_wait_alu 0xfffe
	s_mul_i32 s25, s2, s30
	s_add_co_i32 s26, s2, 1
	s_sub_co_i32 s25, s34, s25
	s_delay_alu instid0(SALU_CYCLE_1)
	s_sub_co_i32 s27, s25, s30
	s_cmp_ge_u32 s25, s30
	s_wait_alu 0xfffe
	s_cselect_b32 s2, s26, s2
	s_cselect_b32 s25, s27, s25
	s_wait_alu 0xfffe
	s_add_co_i32 s26, s2, 1
	s_cmp_ge_u32 s25, s30
	s_mov_b32 s27, 0
	s_wait_alu 0xfffe
	s_cselect_b32 s26, s26, s2
.LBB22_6:
	s_mov_b32 s25, 0
	s_delay_alu instid0(SALU_CYCLE_1)
	s_add_nc_u64 s[30:31], s[28:29], s[24:25]
	s_mov_b32 s34, s25
	s_wait_alu 0xfffe
	s_add_nc_u64 s[30:31], s[30:31], -1
	s_wait_alu 0xfffe
	s_mov_b32 s35, s31
	s_delay_alu instid0(SALU_CYCLE_1)
	s_cmp_lg_u64 s[34:35], 0
	s_cbranch_scc0 .LBB22_61
; %bb.7:
	s_add_nc_u64 s[34:35], s[24:25], 0
	s_mov_b32 s43, s25
	s_xor_b64 s[34:35], s[34:35], 0
	s_mov_b32 s47, s25
	s_cvt_f32_u32 s2, s34
	s_cvt_f32_u32 s38, s35
	s_sub_nc_u64 s[40:41], 0, s[34:35]
	s_wait_alu 0xfffe
	s_delay_alu instid0(SALU_CYCLE_1) | instskip(SKIP_1) | instid1(SALU_CYCLE_2)
	s_fmamk_f32 s2, s38, 0x4f800000, s2
	s_wait_alu 0xfffe
	v_s_rcp_f32 s2, s2
	s_delay_alu instid0(TRANS32_DEP_1) | instskip(SKIP_1) | instid1(SALU_CYCLE_2)
	s_mul_f32 s2, s2, 0x5f7ffffc
	s_wait_alu 0xfffe
	s_mul_f32 s38, s2, 0x2f800000
	s_delay_alu instid0(SALU_CYCLE_3) | instskip(NEXT) | instid1(SALU_CYCLE_3)
	s_trunc_f32 s38, s38
	s_fmamk_f32 s2, s38, 0xcf800000, s2
	s_cvt_u32_f32 s39, s38
	s_wait_alu 0xfffe
	s_delay_alu instid0(SALU_CYCLE_1) | instskip(NEXT) | instid1(SALU_CYCLE_3)
	s_cvt_u32_f32 s38, s2
	s_mul_u64 s[44:45], s[40:41], s[38:39]
	s_delay_alu instid0(SALU_CYCLE_1)
	s_mul_hi_u32 s49, s38, s45
	s_mul_i32 s48, s38, s45
	s_mul_hi_u32 s42, s38, s44
	s_mul_i32 s46, s39, s44
	s_add_nc_u64 s[42:43], s[42:43], s[48:49]
	s_mul_hi_u32 s2, s39, s44
	s_mul_hi_u32 s50, s39, s45
	s_add_co_u32 s42, s42, s46
	s_wait_alu 0xfffe
	s_add_co_ci_u32 s46, s43, s2
	s_mul_i32 s44, s39, s45
	s_add_co_ci_u32 s45, s50, 0
	s_delay_alu instid0(SALU_CYCLE_1)
	s_add_nc_u64 s[42:43], s[46:47], s[44:45]
	s_mov_b32 s45, s25
	s_add_co_u32 s38, s38, s42
	s_cselect_b32 s2, -1, 0
	s_wait_alu 0xfffe
	s_cmp_lg_u32 s2, 0
	s_add_co_ci_u32 s39, s39, s43
	s_mov_b32 s43, s25
	s_mul_u64 s[40:41], s[40:41], s[38:39]
	s_delay_alu instid0(SALU_CYCLE_1)
	s_mul_hi_u32 s47, s38, s41
	s_mul_i32 s46, s38, s41
	s_mul_hi_u32 s42, s38, s40
	s_mul_i32 s44, s39, s40
	s_add_nc_u64 s[42:43], s[42:43], s[46:47]
	s_mul_hi_u32 s2, s39, s40
	s_mul_hi_u32 s48, s39, s41
	s_mul_i32 s40, s39, s41
	s_add_co_u32 s41, s42, s44
	s_wait_alu 0xfffe
	s_add_co_ci_u32 s44, s43, s2
	s_add_co_ci_u32 s41, s48, 0
	s_mov_b32 s43, s25
	s_add_nc_u64 s[40:41], s[44:45], s[40:41]
	s_delay_alu instid0(SALU_CYCLE_1) | instskip(SKIP_1) | instid1(SALU_CYCLE_1)
	s_add_co_u32 s2, s38, s40
	s_cselect_b32 s38, -1, 0
	s_cmp_lg_u32 s38, 0
	s_add_co_ci_u32 s44, s39, s41
	s_ashr_i32 s38, s31, 31
	s_delay_alu instid0(SALU_CYCLE_1) | instskip(NEXT) | instid1(SALU_CYCLE_1)
	s_mov_b32 s39, s38
	s_add_nc_u64 s[40:41], s[30:31], s[38:39]
	s_delay_alu instid0(SALU_CYCLE_1) | instskip(NEXT) | instid1(SALU_CYCLE_1)
	s_xor_b64 s[40:41], s[40:41], s[38:39]
	s_mul_hi_u32 s47, s40, s44
	s_mul_i32 s46, s40, s44
	s_wait_alu 0xfffe
	s_mul_hi_u32 s42, s40, s2
	s_mul_hi_u32 s48, s41, s2
	s_mul_i32 s2, s41, s2
	s_add_nc_u64 s[42:43], s[42:43], s[46:47]
	s_mul_hi_u32 s31, s41, s44
	s_wait_alu 0xfffe
	s_add_co_u32 s2, s42, s2
	s_mul_i32 s46, s41, s44
	s_add_co_ci_u32 s44, s43, s48
	s_add_co_ci_u32 s47, s31, 0
	s_delay_alu instid0(SALU_CYCLE_1) | instskip(NEXT) | instid1(SALU_CYCLE_1)
	s_add_nc_u64 s[42:43], s[44:45], s[46:47]
	s_mul_u64 s[44:45], s[34:35], s[42:43]
	s_delay_alu instid0(SALU_CYCLE_1)
	s_sub_co_u32 s2, s40, s44
	s_cselect_b32 s31, -1, 0
	s_sub_co_i32 s40, s41, s45
	s_wait_alu 0xfffe
	s_cmp_lg_u32 s31, 0
	s_sub_co_ci_u32 s40, s40, s35
	s_sub_co_u32 s44, s2, s34
	s_cselect_b32 s46, -1, 0
	s_delay_alu instid0(SALU_CYCLE_1) | instskip(SKIP_2) | instid1(SALU_CYCLE_1)
	s_cmp_lg_u32 s46, 0
	s_add_nc_u64 s[46:47], s[42:43], 1
	s_sub_co_ci_u32 s40, s40, 0
	s_cmp_ge_u32 s40, s35
	s_cselect_b32 s48, -1, 0
	s_cmp_ge_u32 s44, s34
	s_cselect_b32 s44, -1, 0
	s_cmp_eq_u32 s40, s35
	s_cselect_b32 s40, s44, s48
	s_add_nc_u64 s[48:49], s[42:43], 2
	s_cmp_lg_u32 s40, 0
	s_cselect_b32 s40, s48, s46
	s_cselect_b32 s44, s49, s47
	s_cmp_lg_u32 s31, 0
	s_sub_co_ci_u32 s31, s41, s45
	s_wait_alu 0xfffe
	s_cmp_ge_u32 s31, s35
	s_cselect_b32 s41, -1, 0
	s_cmp_ge_u32 s2, s34
	s_cselect_b32 s2, -1, 0
	s_cmp_eq_u32 s31, s35
	s_wait_alu 0xfffe
	s_cselect_b32 s2, s2, s41
	s_wait_alu 0xfffe
	s_cmp_lg_u32 s2, 0
	s_cselect_b32 s35, s44, s43
	s_cselect_b32 s34, s40, s42
	s_xor_b64 s[38:39], s[38:39], 0
	s_delay_alu instid0(SALU_CYCLE_1) | instskip(NEXT) | instid1(SALU_CYCLE_1)
	s_xor_b64 s[34:35], s[34:35], s[38:39]
	s_sub_nc_u64 s[34:35], s[34:35], s[38:39]
	s_and_not1_b32 vcc_lo, exec_lo, s25
	s_cbranch_vccnz .LBB22_9
.LBB22_8:
	v_cvt_f32_u32_e32 v0, s24
	s_sub_co_i32 s25, 0, s24
	s_mov_b32 s35, 0
	s_delay_alu instid0(VALU_DEP_1) | instskip(NEXT) | instid1(TRANS32_DEP_1)
	v_rcp_iflag_f32_e32 v0, v0
	v_mul_f32_e32 v0, 0x4f7ffffe, v0
	s_delay_alu instid0(VALU_DEP_1) | instskip(NEXT) | instid1(VALU_DEP_1)
	v_cvt_u32_f32_e32 v0, v0
	v_readfirstlane_b32 s2, v0
	s_wait_alu 0xfffe
	s_mul_i32 s25, s25, s2
	s_wait_alu 0xfffe
	s_mul_hi_u32 s25, s2, s25
	s_wait_alu 0xfffe
	s_add_co_i32 s2, s2, s25
	s_wait_alu 0xfffe
	s_mul_hi_u32 s2, s30, s2
	s_wait_alu 0xfffe
	s_mul_i32 s25, s2, s24
	s_wait_alu 0xfffe
	s_sub_co_i32 s25, s30, s25
	s_add_co_i32 s30, s2, 1
	s_wait_alu 0xfffe
	s_sub_co_i32 s31, s25, s24
	s_cmp_ge_u32 s25, s24
	s_cselect_b32 s2, s30, s2
	s_wait_alu 0xfffe
	s_cselect_b32 s25, s31, s25
	s_add_co_i32 s30, s2, 1
	s_wait_alu 0xfffe
	s_cmp_ge_u32 s25, s24
	s_cselect_b32 s34, s30, s2
.LBB22_9:
	s_lshr_b32 s2, ttmp7, 16
	s_bfe_i64 s[24:25], s[26:27], 0x200000
	s_wait_alu 0xfffe
	v_mad_co_u64_u32 v[0:1], null, s2, s26, v[1:2]
	s_mov_b32 s2, exec_lo
	v_ashrrev_i32_e32 v1, 31, v0
	v_add_co_u32 v5, vcc_lo, s24, v0
	s_delay_alu instid0(VALU_DEP_1) | instskip(NEXT) | instid1(VALU_DEP_1)
	v_add_co_ci_u32_e64 v6, null, s25, v1, vcc_lo
	v_cmp_gt_i64_e32 vcc_lo, s[22:23], v[5:6]
	s_wait_alu 0xfffd
	v_cndmask_b32_e32 v19, s22, v5, vcc_lo
	s_delay_alu instid0(VALU_DEP_1)
	v_cmpx_lt_i32_e64 v0, v19
	s_cbranch_execz .LBB22_59
; %bb.10:
	s_and_b32 s2, ttmp7, 0xffff
	s_bfe_i64 s[30:31], s[34:35], 0x200000
	s_wait_alu 0xfffe
	v_mad_co_u64_u32 v[1:2], null, s2, s34, v[2:3]
	s_mul_i32 s2, s3, s37
	s_add_co_i32 s34, s3, 1
	s_wait_alu 0xfffe
	s_sub_co_i32 s2, ttmp9, s2
	s_clause 0x1
	s_load_b128 s[24:27], s[0:1], 0x0
	s_load_b64 s[0:1], s[0:1], 0x70
	s_sub_co_i32 s35, s2, s37
	s_cmp_ge_u32 s2, s37
	v_ashrrev_i32_e32 v3, 31, v1
	s_cselect_b32 s3, s34, s3
	s_wait_alu 0xfffe
	s_cselect_b32 s2, s35, s2
	s_add_co_i32 s34, s3, 1
	s_wait_alu 0xfffe
	s_cmp_ge_u32 s2, s37
	v_add_co_u32 v2, vcc_lo, s30, v1
	s_cselect_b32 s38, s34, s3
	s_mul_u64 s[22:23], s[22:23], s[20:21]
	s_mul_i32 s2, s38, s37
	s_wait_alu 0xfffd
	v_add_co_ci_u32_e64 v3, null, s31, v3, vcc_lo
	s_wait_alu 0xfffe
	s_sub_co_i32 s2, ttmp9, s2
	s_mul_i32 s30, s13, s12
	s_wait_alu 0xfffe
	s_ashr_i32 s3, s2, 31
	s_mul_u64 s[22:23], s[22:23], s[28:29]
	s_mul_i32 s30, s30, s2
	s_wait_alu 0xfffe
	s_mul_u64 s[2:3], s[22:23], s[2:3]
	v_cmp_gt_i64_e32 vcc_lo, s[28:29], v[2:3]
	s_wait_alu 0xfffe
	s_lshl_b64 s[2:3], s[2:3], 1
	s_abs_i32 s29, s16
	s_wait_kmcnt 0x0
	s_wait_alu 0xfffe
	s_add_nc_u64 s[22:23], s[0:1], s[2:3]
	s_cvt_f32_u32 s2, s29
	s_add_co_i32 s3, s14, -1
	s_wait_alu 0xfffd
	v_cndmask_b32_e32 v20, s28, v2, vcc_lo
	v_mad_co_u64_u32 v[2:3], null, s38, s36, v[4:5]
	s_wait_alu 0xfffe
	v_rcp_iflag_f32_e32 v5, s2
	s_abs_i32 s14, s17
	s_ashr_i32 s31, s30, 31
	s_cvt_f32_u32 s2, s14
	s_wait_alu 0xfffe
	s_mul_u64 s[30:31], s[20:21], s[30:31]
	s_add_co_i32 s38, s38, s9
	s_wait_alu 0xfffe
	s_lshl_b64 s[0:1], s[30:31], 1
	v_rcp_iflag_f32_e32 v6, s2
	s_add_nc_u64 s[24:25], s[24:25], s[0:1]
	s_lshl_b64 s[34:35], s[30:31], 3
	v_readfirstlane_b32 s1, v5
	v_mul_lo_u32 v5, s10, v7
	s_mul_i32 s30, s4, s3
	s_sub_co_i32 s3, 0, s29
	v_ashrrev_i32_e32 v3, 31, v2
	s_mul_f32 s1, s1, 0x4f7ffffe
	v_lshlrev_b32_e32 v7, 2, v4
	v_readfirstlane_b32 s2, v6
	s_wait_alu 0xfffe
	s_add_nc_u64 s[26:27], s[26:27], s[34:35]
	v_mul_lo_u32 v5, v5, s36
	s_cvt_u32_f32 s1, s1
	s_add_co_i32 s0, s15, -1
	s_mul_f32 s2, s2, 0x4f7ffffe
	v_mul_lo_u32 v21, s6, v2
	s_mul_i32 s3, s3, s1
	s_mul_i32 s5, s5, s0
	s_wait_alu 0xfffe
	s_mul_hi_u32 s3, s1, s3
	s_cvt_u32_f32 s2, s2
	v_dual_mov_b32 v23, 0 :: v_dual_lshlrev_b32 v6, 2, v5
	s_wait_alu 0xfffe
	s_add_co_i32 s35, s1, s3
	s_sub_co_i32 s1, 0, s14
	v_mad_co_u64_u32 v[4:5], null, s38, s36, v[4:5]
	v_cmp_gt_i64_e64 s0, s[20:21], v[2:3]
	s_mul_i32 s1, s1, s2
	v_add3_u32 v22, v6, v7, 0
	s_mul_i32 s34, s9, s36
	s_mul_hi_u32 s1, s2, s1
	s_not_b32 s31, s30
	s_not_b32 s15, s5
	s_ashr_i32 s10, s16, 31
	s_mov_b32 s16, 0
	s_ashr_i32 s17, s17, 31
	s_add_co_i32 s9, s2, s1
	s_wait_alu 0xfffe
	s_mul_i32 s6, s34, s6
	s_lshl_b32 s36, s36, 2
	v_cmp_lt_i32_e32 vcc_lo, v1, v20
                                        ; implicit-def: $vgpr24
                                        ; implicit-def: $vgpr25
                                        ; implicit-def: $vgpr26
                                        ; implicit-def: $vgpr27
	s_branch .LBB22_13
.LBB22_11:                              ;   in Loop: Header=BB22_13 Depth=1
	s_or_b32 exec_lo, exec_lo, s38
.LBB22_12:                              ;   in Loop: Header=BB22_13 Depth=1
	s_wait_alu 0xfffe
	s_or_b32 exec_lo, exec_lo, s37
	v_add_nc_u32_e32 v0, s33, v0
	s_delay_alu instid0(VALU_DEP_1)
	v_cmp_ge_i32_e64 s1, v0, v19
	s_or_b32 s16, s1, s16
	s_wait_alu 0xfffe
	s_and_not1_b32 exec_lo, exec_lo, s16
	s_cbranch_execz .LBB22_59
.LBB22_13:                              ; =>This Loop Header: Depth=1
                                        ;     Child Loop BB22_19 Depth 2
                                        ;       Child Loop BB22_28 Depth 3
                                        ;         Child Loop BB22_31 Depth 4
                                        ;           Child Loop BB22_34 Depth 5
                                        ;       Child Loop BB22_40 Depth 3
                                        ;       Child Loop BB22_51 Depth 3
                                        ;       Child Loop BB22_57 Depth 3
	v_dual_mov_b32 v28, 0 :: v_dual_add_nc_u32 v5, s18, v0
	s_mov_b32 s2, exec_lo
	s_delay_alu instid0(VALU_DEP_1)
	v_cmpx_lt_i32_e64 s30, v5
	s_cbranch_execz .LBB22_15
; %bb.14:                               ;   in Loop: Header=BB22_13 Depth=1
	v_add_nc_u32_e32 v6, s31, v5
	s_delay_alu instid0(VALU_DEP_1) | instskip(NEXT) | instid1(VALU_DEP_1)
	v_sub_nc_u32_e32 v7, 0, v6
	v_max_i32_e32 v7, v6, v7
	v_ashrrev_i32_e32 v6, 31, v6
	s_delay_alu instid0(VALU_DEP_2) | instskip(NEXT) | instid1(VALU_DEP_2)
	v_mul_hi_u32 v8, v7, s35
	v_xor_b32_e32 v6, s10, v6
	s_delay_alu instid0(VALU_DEP_2) | instskip(NEXT) | instid1(VALU_DEP_1)
	v_mul_lo_u32 v9, v8, s29
	v_sub_nc_u32_e32 v7, v7, v9
	v_add_nc_u32_e32 v9, 1, v8
	s_delay_alu instid0(VALU_DEP_2) | instskip(SKIP_2) | instid1(VALU_DEP_1)
	v_subrev_nc_u32_e32 v10, s29, v7
	v_cmp_le_u32_e64 s1, s29, v7
	s_wait_alu 0xf1ff
	v_cndmask_b32_e64 v8, v8, v9, s1
	s_delay_alu instid0(VALU_DEP_3) | instskip(NEXT) | instid1(VALU_DEP_2)
	v_cndmask_b32_e64 v7, v7, v10, s1
	v_add_nc_u32_e32 v9, 1, v8
	s_delay_alu instid0(VALU_DEP_2) | instskip(SKIP_1) | instid1(VALU_DEP_1)
	v_cmp_le_u32_e64 s1, s29, v7
	s_wait_alu 0xf1ff
	v_cndmask_b32_e64 v7, v8, v9, s1
	s_delay_alu instid0(VALU_DEP_1) | instskip(NEXT) | instid1(VALU_DEP_1)
	v_xor_b32_e32 v7, v7, v6
	v_sub_nc_u32_e32 v6, v7, v6
	s_delay_alu instid0(VALU_DEP_1)
	v_add_nc_u32_e32 v28, 1, v6
.LBB22_15:                              ;   in Loop: Header=BB22_13 Depth=1
	s_wait_alu 0xfffe
	s_or_b32 exec_lo, exec_lo, s2
	s_and_saveexec_b32 s37, vcc_lo
	s_cbranch_execz .LBB22_12
; %bb.16:                               ;   in Loop: Header=BB22_13 Depth=1
	v_sub_nc_u32_e32 v6, 0, v5
	v_add_nc_u32_e32 v10, 1, v28
	v_mul_lo_u32 v30, v0, s28
	s_mov_b32 s38, 0
	v_mov_b32_e32 v34, v1
	v_max_i32_e32 v6, v5, v6
	v_ashrrev_i32_e32 v5, 31, v5
	v_mul_lo_u32 v31, s7, v10
	s_delay_alu instid0(VALU_DEP_3) | instskip(NEXT) | instid1(VALU_DEP_1)
	v_mul_hi_u32 v7, v6, s35
	v_mul_lo_u32 v8, v7, s29
	s_delay_alu instid0(VALU_DEP_1) | instskip(SKIP_1) | instid1(VALU_DEP_2)
	v_sub_nc_u32_e32 v6, v6, v8
	v_add_nc_u32_e32 v8, 1, v7
	v_subrev_nc_u32_e32 v9, s29, v6
	v_cmp_le_u32_e64 s1, s29, v6
	s_wait_alu 0xf1ff
	s_delay_alu instid0(VALU_DEP_1) | instskip(NEXT) | instid1(VALU_DEP_3)
	v_cndmask_b32_e64 v7, v7, v8, s1
	v_cndmask_b32_e64 v6, v6, v9, s1
	v_xor_b32_e32 v9, s10, v5
	s_delay_alu instid0(VALU_DEP_3) | instskip(NEXT) | instid1(VALU_DEP_3)
	v_add_nc_u32_e32 v8, 1, v7
	v_cmp_le_u32_e64 s1, s29, v6
	s_wait_alu 0xf1ff
	s_delay_alu instid0(VALU_DEP_1) | instskip(NEXT) | instid1(VALU_DEP_1)
	v_cndmask_b32_e64 v5, v7, v8, s1
	v_xor_b32_e32 v6, v5, v9
	v_mul_lo_u32 v5, v28, s7
	s_delay_alu instid0(VALU_DEP_2) | instskip(NEXT) | instid1(VALU_DEP_2)
	v_sub_nc_u32_e32 v6, v6, v9
	v_add_nc_u32_e32 v8, s7, v5
	s_delay_alu instid0(VALU_DEP_2) | instskip(SKIP_1) | instid1(VALU_DEP_3)
	v_add_nc_u32_e32 v7, 1, v6
	v_ashrrev_i32_e32 v6, 31, v5
	v_ashrrev_i32_e32 v9, 31, v8
	s_delay_alu instid0(VALU_DEP_3) | instskip(NEXT) | instid1(VALU_DEP_3)
	v_min_i32_e32 v29, s12, v7
	v_lshlrev_b64_e32 v[6:7], 3, v[5:6]
	s_delay_alu instid0(VALU_DEP_3) | instskip(NEXT) | instid1(VALU_DEP_3)
	v_lshlrev_b64_e32 v[8:9], 3, v[8:9]
	v_sub_nc_u32_e32 v11, v29, v28
	v_cmp_eq_u32_e64 s3, v10, v29
	s_delay_alu instid0(VALU_DEP_4)
	v_add_co_u32 v32, s1, s26, v6
	s_wait_alu 0xf1ff
	v_add_co_ci_u32_e64 v33, null, s27, v7, s1
	v_cmp_gt_i32_e64 s4, 3, v11
	v_cmp_gt_i32_e64 s1, v29, v28
	v_cmp_lt_i32_e64 s2, v10, v29
	s_xor_b32 s39, s3, -1
	s_xor_b32 s40, s4, -1
	s_branch .LBB22_19
.LBB22_17:                              ;   in Loop: Header=BB22_19 Depth=2
	s_or_b32 exec_lo, exec_lo, s41
.LBB22_18:                              ;   in Loop: Header=BB22_19 Depth=2
	s_wait_alu 0xfffe
	s_or_b32 exec_lo, exec_lo, s4
	v_add_nc_u32_e32 v34, s11, v34
	s_delay_alu instid0(VALU_DEP_1)
	v_cmp_ge_i32_e64 s3, v34, v20
	s_or_b32 s38, s3, s38
	s_wait_alu 0xfffe
	s_and_not1_b32 exec_lo, exec_lo, s38
	s_cbranch_execz .LBB22_11
.LBB22_19:                              ;   Parent Loop BB22_13 Depth=1
                                        ; =>  This Loop Header: Depth=2
                                        ;       Child Loop BB22_28 Depth 3
                                        ;         Child Loop BB22_31 Depth 4
                                        ;           Child Loop BB22_34 Depth 5
                                        ;       Child Loop BB22_40 Depth 3
                                        ;       Child Loop BB22_51 Depth 3
	;; [unrolled: 1-line block ×3, first 2 shown]
	v_dual_mov_b32 v17, 0 :: v_dual_add_nc_u32 v10, s19, v34
	s_mov_b32 s4, exec_lo
	s_delay_alu instid0(VALU_DEP_1)
	v_cmpx_lt_i32_e64 s5, v10
	s_cbranch_execz .LBB22_21
; %bb.20:                               ;   in Loop: Header=BB22_19 Depth=2
	v_add_nc_u32_e32 v11, s15, v10
	s_delay_alu instid0(VALU_DEP_1) | instskip(NEXT) | instid1(VALU_DEP_1)
	v_sub_nc_u32_e32 v12, 0, v11
	v_max_i32_e32 v12, v11, v12
	v_ashrrev_i32_e32 v11, 31, v11
	s_delay_alu instid0(VALU_DEP_2) | instskip(NEXT) | instid1(VALU_DEP_2)
	v_mul_hi_u32 v13, v12, s9
	v_xor_b32_e32 v11, s17, v11
	s_delay_alu instid0(VALU_DEP_2) | instskip(NEXT) | instid1(VALU_DEP_1)
	v_mul_lo_u32 v14, v13, s14
	v_sub_nc_u32_e32 v12, v12, v14
	v_add_nc_u32_e32 v14, 1, v13
	s_delay_alu instid0(VALU_DEP_2) | instskip(SKIP_2) | instid1(VALU_DEP_1)
	v_subrev_nc_u32_e32 v15, s14, v12
	v_cmp_le_u32_e64 s3, s14, v12
	s_wait_alu 0xf1ff
	v_cndmask_b32_e64 v13, v13, v14, s3
	s_delay_alu instid0(VALU_DEP_3) | instskip(NEXT) | instid1(VALU_DEP_2)
	v_cndmask_b32_e64 v12, v12, v15, s3
	v_add_nc_u32_e32 v14, 1, v13
	s_delay_alu instid0(VALU_DEP_2) | instskip(SKIP_1) | instid1(VALU_DEP_1)
	v_cmp_le_u32_e64 s3, s14, v12
	s_wait_alu 0xf1ff
	v_cndmask_b32_e64 v12, v13, v14, s3
	s_delay_alu instid0(VALU_DEP_1) | instskip(NEXT) | instid1(VALU_DEP_1)
	v_xor_b32_e32 v12, v12, v11
	v_sub_nc_u32_e32 v11, v12, v11
	s_delay_alu instid0(VALU_DEP_1)
	v_add_nc_u32_e32 v17, 1, v11
.LBB22_21:                              ;   in Loop: Header=BB22_19 Depth=2
	s_wait_alu 0xfffe
	s_or_b32 exec_lo, exec_lo, s4
	v_sub_nc_u32_e32 v11, 0, v10
	s_delay_alu instid0(VALU_DEP_1) | instskip(SKIP_1) | instid1(VALU_DEP_2)
	v_max_i32_e32 v11, v10, v11
	v_ashrrev_i32_e32 v10, 31, v10
	v_mul_hi_u32 v12, v11, s9
	s_delay_alu instid0(VALU_DEP_2) | instskip(NEXT) | instid1(VALU_DEP_2)
	v_xor_b32_e32 v10, s17, v10
	v_mul_lo_u32 v13, v12, s14
	s_delay_alu instid0(VALU_DEP_1) | instskip(SKIP_1) | instid1(VALU_DEP_2)
	v_sub_nc_u32_e32 v11, v11, v13
	v_add_nc_u32_e32 v13, 1, v12
	v_subrev_nc_u32_e32 v14, s14, v11
	v_cmp_le_u32_e64 s3, s14, v11
	s_wait_alu 0xf1ff
	s_delay_alu instid0(VALU_DEP_1) | instskip(NEXT) | instid1(VALU_DEP_3)
	v_cndmask_b32_e64 v12, v12, v13, s3
	v_cndmask_b32_e64 v11, v11, v14, s3
	s_delay_alu instid0(VALU_DEP_2) | instskip(NEXT) | instid1(VALU_DEP_2)
	v_add_nc_u32_e32 v13, 1, v12
	v_cmp_le_u32_e64 s3, s14, v11
	s_wait_alu 0xf1ff
	s_delay_alu instid0(VALU_DEP_1) | instskip(NEXT) | instid1(VALU_DEP_1)
	v_cndmask_b32_e64 v11, v12, v13, s3
	v_xor_b32_e32 v11, v11, v10
	s_delay_alu instid0(VALU_DEP_1) | instskip(SKIP_1) | instid1(VALU_DEP_2)
	v_sub_nc_u32_e32 v10, v11, v10
	v_add_nc_u32_e32 v11, 1, v17
	v_add_nc_u32_e32 v10, 1, v10
	s_delay_alu instid0(VALU_DEP_1) | instskip(SKIP_1) | instid1(VALU_DEP_2)
	v_min_i32_e32 v18, s13, v10
	v_add_nc_u32_e32 v10, v34, v30
	v_cmp_ne_u32_e64 s3, v11, v18
	s_or_b32 s3, s39, s3
	s_wait_alu 0xfffe
	s_and_saveexec_b32 s4, s3
	s_wait_alu 0xfffe
	s_xor_b32 s41, exec_lo, s4
	s_cbranch_execz .LBB22_53
; %bb.22:                               ;   in Loop: Header=BB22_19 Depth=2
	v_sub_nc_u32_e32 v12, v18, v17
	s_delay_alu instid0(VALU_DEP_1)
	v_cmp_lt_i32_e64 s3, 2, v12
	s_or_b32 s3, s40, s3
	s_wait_alu 0xfffe
	s_and_saveexec_b32 s4, s3
	s_wait_alu 0xfffe
	s_xor_b32 s42, exec_lo, s4
	s_cbranch_execnz .LBB22_25
; %bb.23:                               ;   in Loop: Header=BB22_19 Depth=2
	s_and_not1_saveexec_b32 s42, s42
	s_cbranch_execnz .LBB22_37
.LBB22_24:                              ;   in Loop: Header=BB22_19 Depth=2
	s_or_b32 exec_lo, exec_lo, s42
	s_and_saveexec_b32 s42, s0
	s_cbranch_execnz .LBB22_50
	s_branch .LBB22_52
.LBB22_25:                              ;   in Loop: Header=BB22_19 Depth=2
	s_and_saveexec_b32 s43, s1
	s_cbranch_execz .LBB22_36
; %bb.26:                               ;   in Loop: Header=BB22_19 Depth=2
	v_mad_co_u64_u32 v[12:13], null, s8, v17, v[5:6]
	v_cmp_gt_i32_e64 s3, v18, v17
	v_ashrrev_i32_e32 v11, 31, v10
	v_mov_b32_e32 v35, v28
	s_mov_b32 s44, 0
	s_branch .LBB22_28
.LBB22_27:                              ;   in Loop: Header=BB22_28 Depth=3
	s_or_b32 exec_lo, exec_lo, s45
	v_add_nc_u32_e32 v35, 1, v35
	v_add_nc_u32_e32 v12, s7, v12
	s_delay_alu instid0(VALU_DEP_2) | instskip(SKIP_1) | instid1(SALU_CYCLE_1)
	v_cmp_ge_i32_e64 s4, v35, v29
	s_or_b32 s44, s4, s44
	s_and_not1_b32 exec_lo, exec_lo, s44
	s_cbranch_execz .LBB22_36
.LBB22_28:                              ;   Parent Loop BB22_13 Depth=1
                                        ;     Parent Loop BB22_19 Depth=2
                                        ; =>    This Loop Header: Depth=3
                                        ;         Child Loop BB22_31 Depth 4
                                        ;           Child Loop BB22_34 Depth 5
	s_and_saveexec_b32 s45, s3
	s_cbranch_execz .LBB22_27
; %bb.29:                               ;   in Loop: Header=BB22_28 Depth=3
	v_mul_lo_u32 v13, v35, s7
	v_dual_mov_b32 v36, v12 :: v_dual_mov_b32 v39, v17
	s_mov_b32 s46, 0
	s_delay_alu instid0(VALU_DEP_2) | instskip(NEXT) | instid1(VALU_DEP_1)
	v_ashrrev_i32_e32 v14, 31, v13
	v_lshlrev_b64_e32 v[13:14], 3, v[13:14]
	s_delay_alu instid0(VALU_DEP_1) | instskip(SKIP_1) | instid1(VALU_DEP_2)
	v_add_co_u32 v37, s4, s26, v13
	s_wait_alu 0xf1ff
	v_add_co_ci_u32_e64 v38, null, s27, v14, s4
	s_branch .LBB22_31
.LBB22_30:                              ;   in Loop: Header=BB22_31 Depth=4
	s_or_b32 exec_lo, exec_lo, s47
	v_add_nc_u32_e32 v39, 1, v39
	v_add_nc_u32_e32 v36, s8, v36
	s_delay_alu instid0(VALU_DEP_2) | instskip(SKIP_1) | instid1(SALU_CYCLE_1)
	v_cmp_ge_i32_e64 s4, v39, v18
	s_or_b32 s46, s4, s46
	s_and_not1_b32 exec_lo, exec_lo, s46
	s_cbranch_execz .LBB22_27
.LBB22_31:                              ;   Parent Loop BB22_13 Depth=1
                                        ;     Parent Loop BB22_19 Depth=2
                                        ;       Parent Loop BB22_28 Depth=3
                                        ; =>      This Loop Header: Depth=4
                                        ;           Child Loop BB22_34 Depth 5
	s_and_saveexec_b32 s47, s0
	s_cbranch_execz .LBB22_30
; %bb.32:                               ;   in Loop: Header=BB22_31 Depth=4
	v_mul_lo_u32 v13, v39, s8
	v_mov_b32_e32 v40, v22
	s_mov_b32 s48, 0
	s_delay_alu instid0(VALU_DEP_2) | instskip(NEXT) | instid1(VALU_DEP_1)
	v_ashrrev_i32_e32 v14, 31, v13
	v_lshlrev_b64_e32 v[14:15], 3, v[13:14]
	v_mov_b32_e32 v13, v4
	s_delay_alu instid0(VALU_DEP_2) | instskip(SKIP_1) | instid1(VALU_DEP_3)
	v_add_co_u32 v41, s4, v37, v14
	s_wait_alu 0xf1ff
	v_add_co_ci_u32_e64 v42, null, v38, v15, s4
	v_mov_b32_e32 v15, v21
	s_branch .LBB22_34
.LBB22_33:                              ;   in Loop: Header=BB22_34 Depth=5
	s_wait_alu 0xfffe
	s_or_b32 exec_lo, exec_lo, s49
	v_ashrrev_i32_e32 v14, 31, v13
	v_add_nc_u32_e32 v15, s6, v15
	v_add_nc_u32_e32 v40, s36, v40
	s_delay_alu instid0(VALU_DEP_3)
	v_cmp_le_i64_e64 s4, s[20:21], v[13:14]
	v_add_nc_u32_e32 v13, s34, v13
	s_or_b32 s48, s4, s48
	s_wait_alu 0xfffe
	s_and_not1_b32 exec_lo, exec_lo, s48
	s_cbranch_execz .LBB22_30
.LBB22_34:                              ;   Parent Loop BB22_13 Depth=1
                                        ;     Parent Loop BB22_19 Depth=2
                                        ;       Parent Loop BB22_28 Depth=3
                                        ;         Parent Loop BB22_31 Depth=4
                                        ; =>        This Inner Loop Header: Depth=5
	s_delay_alu instid0(VALU_DEP_1) | instskip(SKIP_1) | instid1(VALU_DEP_1)
	v_ashrrev_i32_e32 v16, 31, v15
	s_mov_b32 s49, exec_lo
	v_lshlrev_b64_e32 v[43:44], 3, v[15:16]
	s_delay_alu instid0(VALU_DEP_1) | instskip(SKIP_1) | instid1(VALU_DEP_2)
	v_add_co_u32 v43, s4, v41, v43
	s_wait_alu 0xf1ff
	v_add_co_ci_u32_e64 v44, null, v42, v44, s4
	global_load_b64 v[43:44], v[43:44], off
	s_wait_loadcnt 0x0
	v_cmpx_eq_u64_e64 v[43:44], v[10:11]
	s_cbranch_execz .LBB22_33
; %bb.35:                               ;   in Loop: Header=BB22_34 Depth=5
	v_add_nc_u32_e32 v43, v36, v15
	ds_load_b32 v16, v40
	v_ashrrev_i32_e32 v44, 31, v43
	s_delay_alu instid0(VALU_DEP_1) | instskip(NEXT) | instid1(VALU_DEP_1)
	v_lshlrev_b64_e32 v[43:44], 1, v[43:44]
	v_add_co_u32 v43, s4, s24, v43
	s_wait_alu 0xf1ff
	s_delay_alu instid0(VALU_DEP_2) | instskip(SKIP_4) | instid1(VALU_DEP_1)
	v_add_co_ci_u32_e64 v44, null, s25, v44, s4
	global_load_u16 v14, v[43:44], off
	s_wait_loadcnt 0x0
	v_cvt_f32_f16_e32 v14, v14
	s_wait_dscnt 0x0
	v_add_f32_e32 v14, v16, v14
	ds_store_b32 v40, v14
	s_branch .LBB22_33
.LBB22_36:                              ;   in Loop: Header=BB22_19 Depth=2
	s_or_b32 exec_lo, exec_lo, s43
                                        ; implicit-def: $vgpr18
                                        ; implicit-def: $vgpr17
                                        ; implicit-def: $vgpr11
	s_and_not1_saveexec_b32 s42, s42
	s_cbranch_execz .LBB22_24
.LBB22_37:                              ;   in Loop: Header=BB22_19 Depth=2
	s_and_saveexec_b32 s43, s0
	s_cbranch_execz .LBB22_49
; %bb.38:                               ;   in Loop: Header=BB22_19 Depth=2
	v_mul_lo_u32 v12, v17, s8
	v_mov_b32_e32 v35, v22
	v_cmp_gt_i32_e64 s3, v18, v17
	v_cmp_lt_i32_e64 s4, v11, v18
	v_mov_b32_e32 v17, v21
	s_and_b32 s44, s1, s3
	v_add_nc_u32_e32 v14, s8, v12
	v_ashrrev_i32_e32 v13, 31, v12
	v_add_nc_u32_e32 v36, v31, v12
	v_add_nc_u32_e32 v37, v5, v12
	s_and_b32 s45, s1, s4
	v_ashrrev_i32_e32 v15, 31, v14
	v_add_nc_u32_e32 v38, v31, v14
	v_add_nc_u32_e32 v39, v5, v14
	v_lshlrev_b64_e32 v[11:12], 3, v[12:13]
	s_and_b32 s46, s2, s3
	v_lshlrev_b64_e32 v[13:14], 3, v[14:15]
	v_mov_b32_e32 v15, v4
	s_and_b32 s47, s2, s4
	s_mov_b32 s4, 0
	s_branch .LBB22_40
.LBB22_39:                              ;   in Loop: Header=BB22_40 Depth=3
	s_wait_alu 0xfffe
	s_or_b32 exec_lo, exec_lo, s51
	s_wait_loadcnt 0x0
	v_cvt_f32_f16_e32 v16, v27
	v_cvt_f32_f16_e32 v18, v26
	;; [unrolled: 1-line block ×4, first 2 shown]
	s_delay_alu instid0(VALU_DEP_4) | instskip(NEXT) | instid1(VALU_DEP_1)
	v_dual_add_f32 v16, 0, v16 :: v_dual_add_nc_u32 v17, s6, v17
	v_cndmask_b32_e64 v16, 0, v16, s48
	s_delay_alu instid0(VALU_DEP_1) | instskip(NEXT) | instid1(VALU_DEP_1)
	v_add_f32_e32 v18, v16, v18
	v_cndmask_b32_e64 v16, v16, v18, s50
	ds_load_b32 v18, v35
	v_add_f32_e32 v40, v16, v40
	s_delay_alu instid0(VALU_DEP_1) | instskip(NEXT) | instid1(VALU_DEP_1)
	v_cndmask_b32_e64 v16, v16, v40, s49
	v_add_f32_e32 v40, v16, v41
	s_delay_alu instid0(VALU_DEP_1) | instskip(SKIP_2) | instid1(VALU_DEP_2)
	v_cndmask_b32_e64 v40, v16, v40, s3
	v_ashrrev_i32_e32 v16, 31, v15
	s_wait_dscnt 0x0
	v_add_f32_e32 v18, v40, v18
	s_delay_alu instid0(VALU_DEP_2)
	v_cmp_le_i64_e64 s3, s[20:21], v[15:16]
	v_add_nc_u32_e32 v15, s34, v15
	ds_store_b32 v35, v18
	v_add_nc_u32_e32 v35, s36, v35
	s_or_b32 s4, s3, s4
	s_wait_alu 0xfffe
	s_and_not1_b32 exec_lo, exec_lo, s4
	s_cbranch_execz .LBB22_48
.LBB22_40:                              ;   Parent Loop BB22_13 Depth=1
                                        ;     Parent Loop BB22_19 Depth=2
                                        ; =>    This Inner Loop Header: Depth=3
	v_ashrrev_i32_e32 v18, 31, v17
	s_mov_b32 s48, 0
	s_delay_alu instid0(VALU_DEP_1) | instskip(NEXT) | instid1(VALU_DEP_1)
	v_lshlrev_b64_e32 v[40:41], 3, v[17:18]
	v_add_co_u32 v16, s3, s26, v40
	s_wait_alu 0xf1ff
	s_delay_alu instid0(VALU_DEP_2) | instskip(NEXT) | instid1(VALU_DEP_2)
	v_add_co_ci_u32_e64 v18, null, s27, v41, s3
	v_add_co_u32 v40, s3, v16, v6
	s_wait_alu 0xf1ff
	s_delay_alu instid0(VALU_DEP_2)
	v_add_co_ci_u32_e64 v41, null, v18, v7, s3
	s_and_saveexec_b32 s49, s44
	s_cbranch_execz .LBB22_42
; %bb.41:                               ;   in Loop: Header=BB22_40 Depth=3
	v_add_nc_u32_e32 v42, v37, v17
	v_add_co_u32 v44, s3, v40, v11
	s_wait_alu 0xf1ff
	v_add_co_ci_u32_e64 v45, null, v41, v12, s3
	s_delay_alu instid0(VALU_DEP_3) | instskip(SKIP_2) | instid1(VALU_DEP_1)
	v_ashrrev_i32_e32 v43, 31, v42
	global_load_b32 v44, v[44:45], off
	v_lshlrev_b64_e32 v[42:43], 1, v[42:43]
	v_add_co_u32 v42, s3, s24, v42
	s_wait_alu 0xf1ff
	s_delay_alu instid0(VALU_DEP_2)
	v_add_co_ci_u32_e64 v43, null, s25, v43, s3
	global_load_u16 v27, v[42:43], off
	s_wait_loadcnt 0x1
	v_cmp_eq_u32_e64 s3, v10, v44
	s_and_b32 s48, s3, exec_lo
.LBB22_42:                              ;   in Loop: Header=BB22_40 Depth=3
	s_wait_alu 0xfffe
	s_or_b32 exec_lo, exec_lo, s49
	s_mov_b32 s49, 0
	s_mov_b32 s50, 0
	s_and_saveexec_b32 s51, s45
	s_cbranch_execz .LBB22_44
; %bb.43:                               ;   in Loop: Header=BB22_40 Depth=3
	v_add_nc_u32_e32 v42, v39, v17
	v_add_co_u32 v40, s3, v40, v13
	s_wait_alu 0xf1ff
	v_add_co_ci_u32_e64 v41, null, v41, v14, s3
	s_delay_alu instid0(VALU_DEP_3) | instskip(SKIP_2) | instid1(VALU_DEP_1)
	v_ashrrev_i32_e32 v43, 31, v42
	global_load_b32 v44, v[40:41], off
	v_lshlrev_b64_e32 v[42:43], 1, v[42:43]
	v_add_co_u32 v40, s3, s24, v42
	s_wait_alu 0xf1ff
	s_delay_alu instid0(VALU_DEP_2)
	v_add_co_ci_u32_e64 v41, null, s25, v43, s3
	global_load_u16 v26, v[40:41], off
	s_wait_loadcnt 0x1
	v_cmp_eq_u32_e64 s3, v10, v44
	s_and_b32 s50, s3, exec_lo
.LBB22_44:                              ;   in Loop: Header=BB22_40 Depth=3
	s_wait_alu 0xfffe
	s_or_b32 exec_lo, exec_lo, s51
	v_add_co_u32 v16, s3, v16, v8
	s_wait_alu 0xf1ff
	v_add_co_ci_u32_e64 v18, null, v18, v9, s3
	s_and_saveexec_b32 s51, s46
	s_cbranch_execz .LBB22_46
; %bb.45:                               ;   in Loop: Header=BB22_40 Depth=3
	v_add_nc_u32_e32 v40, v36, v17
	v_add_co_u32 v42, s3, v16, v11
	s_wait_alu 0xf1ff
	v_add_co_ci_u32_e64 v43, null, v18, v12, s3
	s_delay_alu instid0(VALU_DEP_3) | instskip(SKIP_2) | instid1(VALU_DEP_1)
	v_ashrrev_i32_e32 v41, 31, v40
	global_load_b32 v42, v[42:43], off
	v_lshlrev_b64_e32 v[40:41], 1, v[40:41]
	v_add_co_u32 v40, s3, s24, v40
	s_wait_alu 0xf1ff
	s_delay_alu instid0(VALU_DEP_2)
	v_add_co_ci_u32_e64 v41, null, s25, v41, s3
	global_load_u16 v25, v[40:41], off
	s_wait_loadcnt 0x1
	v_cmp_eq_u32_e64 s3, v10, v42
	s_and_b32 s49, s3, exec_lo
.LBB22_46:                              ;   in Loop: Header=BB22_40 Depth=3
	s_wait_alu 0xfffe
	s_or_b32 exec_lo, exec_lo, s51
	s_mov_b32 s3, 0
	s_and_saveexec_b32 s51, s47
	s_cbranch_execz .LBB22_39
; %bb.47:                               ;   in Loop: Header=BB22_40 Depth=3
	v_add_nc_u32_e32 v40, v38, v17
	v_add_co_u32 v42, s3, v16, v13
	s_wait_alu 0xf1fe
	v_add_co_ci_u32_e64 v43, null, v18, v14, s3
	s_delay_alu instid0(VALU_DEP_3) | instskip(SKIP_2) | instid1(VALU_DEP_1)
	v_ashrrev_i32_e32 v41, 31, v40
	global_load_b32 v16, v[42:43], off
	v_lshlrev_b64_e32 v[40:41], 1, v[40:41]
	v_add_co_u32 v40, s3, s24, v40
	s_wait_alu 0xf1ff
	s_delay_alu instid0(VALU_DEP_2)
	v_add_co_ci_u32_e64 v41, null, s25, v41, s3
	global_load_u16 v24, v[40:41], off
	s_wait_loadcnt 0x1
	v_cmp_eq_u32_e64 s3, v10, v16
	s_and_b32 s3, s3, exec_lo
	s_branch .LBB22_39
.LBB22_48:                              ;   in Loop: Header=BB22_19 Depth=2
	s_or_b32 exec_lo, exec_lo, s4
.LBB22_49:                              ;   in Loop: Header=BB22_19 Depth=2
	s_delay_alu instid0(SALU_CYCLE_1) | instskip(NEXT) | instid1(SALU_CYCLE_1)
	s_or_b32 exec_lo, exec_lo, s43
	s_or_b32 exec_lo, exec_lo, s42
	s_and_saveexec_b32 s42, s0
	s_cbranch_execz .LBB22_52
.LBB22_50:                              ;   in Loop: Header=BB22_19 Depth=2
	v_ashrrev_i32_e32 v12, 31, v10
	v_mul_lo_u32 v13, s21, v10
	v_mad_co_u64_u32 v[10:11], null, s20, v10, 0
	v_mov_b32_e32 v14, v22
	s_delay_alu instid0(VALU_DEP_4) | instskip(SKIP_1) | instid1(VALU_DEP_1)
	v_mul_lo_u32 v12, s20, v12
	s_mov_b32 s43, 0
	v_add3_u32 v11, v11, v12, v13
	s_delay_alu instid0(VALU_DEP_1) | instskip(SKIP_1) | instid1(VALU_DEP_2)
	v_lshlrev_b64_e32 v[11:12], 1, v[10:11]
	v_mov_b32_e32 v10, v4
	v_add_co_u32 v15, s3, s22, v11
	s_wait_alu 0xf1ff
	s_delay_alu instid0(VALU_DEP_3)
	v_add_co_ci_u32_e64 v16, null, s23, v12, s3
	v_dual_mov_b32 v13, v3 :: v_dual_mov_b32 v12, v2
.LBB22_51:                              ;   Parent Loop BB22_13 Depth=1
                                        ;     Parent Loop BB22_19 Depth=2
                                        ; =>    This Inner Loop Header: Depth=3
	ds_load_b32 v35, v14
	v_ashrrev_i32_e32 v11, 31, v10
	v_lshlrev_b64_e32 v[17:18], 1, v[12:13]
	ds_store_b32 v14, v23
	v_dual_mov_b32 v13, v11 :: v_dual_add_nc_u32 v14, s36, v14
	v_cmp_le_i64_e64 s3, s[20:21], v[10:11]
	v_add_co_u32 v17, s4, v15, v17
	v_mov_b32_e32 v12, v10
	s_wait_alu 0xf1ff
	v_add_co_ci_u32_e64 v18, null, v16, v18, s4
	v_add_nc_u32_e32 v10, s34, v10
	s_or_b32 s43, s3, s43
	s_wait_dscnt 0x1
	v_cvt_f16_f32_e32 v11, v35
	global_store_b16 v[17:18], v11, off
	s_and_not1_b32 exec_lo, exec_lo, s43
	s_cbranch_execnz .LBB22_51
.LBB22_52:                              ;   in Loop: Header=BB22_19 Depth=2
	s_or_b32 exec_lo, exec_lo, s42
                                        ; implicit-def: $vgpr17
                                        ; implicit-def: $vgpr10
.LBB22_53:                              ;   in Loop: Header=BB22_19 Depth=2
	s_and_not1_saveexec_b32 s4, s41
	s_cbranch_execz .LBB22_18
; %bb.54:                               ;   in Loop: Header=BB22_19 Depth=2
	s_and_saveexec_b32 s41, s0
	s_cbranch_execz .LBB22_17
; %bb.55:                               ;   in Loop: Header=BB22_19 Depth=2
	v_ashrrev_i32_e32 v11, 31, v10
	v_mul_lo_u32 v13, v17, s8
	v_mul_lo_u32 v12, s21, v10
	v_mad_co_u64_u32 v[15:16], null, s20, v10, 0
	s_delay_alu instid0(VALU_DEP_4) | instskip(SKIP_1) | instid1(VALU_DEP_4)
	v_mul_lo_u32 v17, s20, v11
	s_mov_b32 s42, 0
	v_ashrrev_i32_e32 v14, 31, v13
	v_add_nc_u32_e32 v18, v13, v5
	s_delay_alu instid0(VALU_DEP_3) | instskip(NEXT) | instid1(VALU_DEP_3)
	v_add3_u32 v16, v16, v17, v12
	v_lshlrev_b64_e32 v[35:36], 3, v[13:14]
	v_mov_b32_e32 v12, v4
	v_mov_b32_e32 v14, v21
	s_delay_alu instid0(VALU_DEP_4) | instskip(NEXT) | instid1(VALU_DEP_4)
	v_lshlrev_b64_e32 v[15:16], 1, v[15:16]
	v_add_co_u32 v35, s3, v32, v35
	s_wait_alu 0xf1ff
	v_add_co_ci_u32_e64 v36, null, v33, v36, s3
	s_delay_alu instid0(VALU_DEP_3)
	v_add_co_u32 v37, s3, s22, v15
	s_wait_alu 0xf1ff
	v_add_co_ci_u32_e64 v38, null, s23, v16, s3
	v_dual_mov_b32 v17, v3 :: v_dual_mov_b32 v16, v2
	s_branch .LBB22_57
.LBB22_56:                              ;   in Loop: Header=BB22_57 Depth=3
	s_or_b32 exec_lo, exec_lo, s43
	v_ashrrev_i32_e32 v13, 31, v12
	v_add_nc_u32_e32 v14, s6, v14
	s_delay_alu instid0(VALU_DEP_2) | instskip(SKIP_3) | instid1(SALU_CYCLE_1)
	v_cmp_le_i64_e64 s3, s[20:21], v[12:13]
	v_dual_mov_b32 v17, v13 :: v_dual_mov_b32 v16, v12
	v_add_nc_u32_e32 v12, s34, v12
	s_or_b32 s42, s3, s42
	s_and_not1_b32 exec_lo, exec_lo, s42
	s_cbranch_execz .LBB22_17
.LBB22_57:                              ;   Parent Loop BB22_13 Depth=1
                                        ;     Parent Loop BB22_19 Depth=2
                                        ; =>    This Inner Loop Header: Depth=3
	v_ashrrev_i32_e32 v15, 31, v14
	s_mov_b32 s43, exec_lo
	s_delay_alu instid0(VALU_DEP_1) | instskip(NEXT) | instid1(VALU_DEP_1)
	v_lshlrev_b64_e32 v[39:40], 3, v[14:15]
	v_add_co_u32 v39, s3, v35, v39
	s_wait_alu 0xf1ff
	s_delay_alu instid0(VALU_DEP_2)
	v_add_co_ci_u32_e64 v40, null, v36, v40, s3
	global_load_b64 v[39:40], v[39:40], off
	s_wait_loadcnt 0x0
	v_cmpx_eq_u64_e64 v[39:40], v[10:11]
	s_cbranch_execz .LBB22_56
; %bb.58:                               ;   in Loop: Header=BB22_57 Depth=3
	v_add_nc_u32_e32 v39, v18, v14
	v_lshlrev_b64_e32 v[15:16], 1, v[16:17]
	s_delay_alu instid0(VALU_DEP_2) | instskip(NEXT) | instid1(VALU_DEP_1)
	v_ashrrev_i32_e32 v40, 31, v39
	v_lshlrev_b64_e32 v[39:40], 1, v[39:40]
	s_delay_alu instid0(VALU_DEP_1) | instskip(SKIP_1) | instid1(VALU_DEP_2)
	v_add_co_u32 v39, s3, s24, v39
	s_wait_alu 0xf1ff
	v_add_co_ci_u32_e64 v40, null, s25, v40, s3
	v_add_co_u32 v15, s3, v37, v15
	s_wait_alu 0xf1ff
	v_add_co_ci_u32_e64 v16, null, v38, v16, s3
	global_load_u16 v13, v[39:40], off
	s_wait_loadcnt 0x0
	global_store_b16 v[15:16], v13, off
	s_branch .LBB22_56
.LBB22_59:
	s_endpgm
.LBB22_60:
                                        ; implicit-def: $sgpr26_sgpr27
	s_branch .LBB22_5
.LBB22_61:
                                        ; implicit-def: $sgpr34_sgpr35
	s_branch .LBB22_8
	.section	.rodata,"a",@progbits
	.p2align	6, 0x0
	.amdhsa_kernel _ZN2at6native12_GLOBAL__N_122max_pool_backward_nhwcIN3c104HalfEfEEvPKT_PKlillliiiiiiiiiiiiiiiPS5_
		.amdhsa_group_segment_fixed_size 0
		.amdhsa_private_segment_fixed_size 0
		.amdhsa_kernarg_size 376
		.amdhsa_user_sgpr_count 2
		.amdhsa_user_sgpr_dispatch_ptr 0
		.amdhsa_user_sgpr_queue_ptr 0
		.amdhsa_user_sgpr_kernarg_segment_ptr 1
		.amdhsa_user_sgpr_dispatch_id 0
		.amdhsa_user_sgpr_private_segment_size 0
		.amdhsa_wavefront_size32 1
		.amdhsa_uses_dynamic_stack 0
		.amdhsa_enable_private_segment 0
		.amdhsa_system_sgpr_workgroup_id_x 1
		.amdhsa_system_sgpr_workgroup_id_y 1
		.amdhsa_system_sgpr_workgroup_id_z 1
		.amdhsa_system_sgpr_workgroup_info 0
		.amdhsa_system_vgpr_workitem_id 2
		.amdhsa_next_free_vgpr 46
		.amdhsa_next_free_sgpr 52
		.amdhsa_reserve_vcc 1
		.amdhsa_float_round_mode_32 0
		.amdhsa_float_round_mode_16_64 0
		.amdhsa_float_denorm_mode_32 3
		.amdhsa_float_denorm_mode_16_64 3
		.amdhsa_fp16_overflow 0
		.amdhsa_workgroup_processor_mode 1
		.amdhsa_memory_ordered 1
		.amdhsa_forward_progress 1
		.amdhsa_inst_pref_size 41
		.amdhsa_round_robin_scheduling 0
		.amdhsa_exception_fp_ieee_invalid_op 0
		.amdhsa_exception_fp_denorm_src 0
		.amdhsa_exception_fp_ieee_div_zero 0
		.amdhsa_exception_fp_ieee_overflow 0
		.amdhsa_exception_fp_ieee_underflow 0
		.amdhsa_exception_fp_ieee_inexact 0
		.amdhsa_exception_int_div_zero 0
	.end_amdhsa_kernel
	.section	.text._ZN2at6native12_GLOBAL__N_122max_pool_backward_nhwcIN3c104HalfEfEEvPKT_PKlillliiiiiiiiiiiiiiiPS5_,"axG",@progbits,_ZN2at6native12_GLOBAL__N_122max_pool_backward_nhwcIN3c104HalfEfEEvPKT_PKlillliiiiiiiiiiiiiiiPS5_,comdat
.Lfunc_end22:
	.size	_ZN2at6native12_GLOBAL__N_122max_pool_backward_nhwcIN3c104HalfEfEEvPKT_PKlillliiiiiiiiiiiiiiiPS5_, .Lfunc_end22-_ZN2at6native12_GLOBAL__N_122max_pool_backward_nhwcIN3c104HalfEfEEvPKT_PKlillliiiiiiiiiiiiiiiPS5_
                                        ; -- End function
	.set _ZN2at6native12_GLOBAL__N_122max_pool_backward_nhwcIN3c104HalfEfEEvPKT_PKlillliiiiiiiiiiiiiiiPS5_.num_vgpr, 46
	.set _ZN2at6native12_GLOBAL__N_122max_pool_backward_nhwcIN3c104HalfEfEEvPKT_PKlillliiiiiiiiiiiiiiiPS5_.num_agpr, 0
	.set _ZN2at6native12_GLOBAL__N_122max_pool_backward_nhwcIN3c104HalfEfEEvPKT_PKlillliiiiiiiiiiiiiiiPS5_.numbered_sgpr, 52
	.set _ZN2at6native12_GLOBAL__N_122max_pool_backward_nhwcIN3c104HalfEfEEvPKT_PKlillliiiiiiiiiiiiiiiPS5_.num_named_barrier, 0
	.set _ZN2at6native12_GLOBAL__N_122max_pool_backward_nhwcIN3c104HalfEfEEvPKT_PKlillliiiiiiiiiiiiiiiPS5_.private_seg_size, 0
	.set _ZN2at6native12_GLOBAL__N_122max_pool_backward_nhwcIN3c104HalfEfEEvPKT_PKlillliiiiiiiiiiiiiiiPS5_.uses_vcc, 1
	.set _ZN2at6native12_GLOBAL__N_122max_pool_backward_nhwcIN3c104HalfEfEEvPKT_PKlillliiiiiiiiiiiiiiiPS5_.uses_flat_scratch, 0
	.set _ZN2at6native12_GLOBAL__N_122max_pool_backward_nhwcIN3c104HalfEfEEvPKT_PKlillliiiiiiiiiiiiiiiPS5_.has_dyn_sized_stack, 0
	.set _ZN2at6native12_GLOBAL__N_122max_pool_backward_nhwcIN3c104HalfEfEEvPKT_PKlillliiiiiiiiiiiiiiiPS5_.has_recursion, 0
	.set _ZN2at6native12_GLOBAL__N_122max_pool_backward_nhwcIN3c104HalfEfEEvPKT_PKlillliiiiiiiiiiiiiiiPS5_.has_indirect_call, 0
	.section	.AMDGPU.csdata,"",@progbits
; Kernel info:
; codeLenInByte = 5192
; TotalNumSgprs: 54
; NumVgprs: 46
; ScratchSize: 0
; MemoryBound: 0
; FloatMode: 240
; IeeeMode: 1
; LDSByteSize: 0 bytes/workgroup (compile time only)
; SGPRBlocks: 0
; VGPRBlocks: 5
; NumSGPRsForWavesPerEU: 54
; NumVGPRsForWavesPerEU: 46
; Occupancy: 16
; WaveLimiterHint : 0
; COMPUTE_PGM_RSRC2:SCRATCH_EN: 0
; COMPUTE_PGM_RSRC2:USER_SGPR: 2
; COMPUTE_PGM_RSRC2:TRAP_HANDLER: 0
; COMPUTE_PGM_RSRC2:TGID_X_EN: 1
; COMPUTE_PGM_RSRC2:TGID_Y_EN: 1
; COMPUTE_PGM_RSRC2:TGID_Z_EN: 1
; COMPUTE_PGM_RSRC2:TIDIG_COMP_CNT: 2
	.section	.text._ZN2at6native12_GLOBAL__N_122max_pool_backward_nchwIN3c104HalfEfiEEvPKT_PKlT1_SA_SA_SA_SA_SA_iiiiiiiiPS5_,"axG",@progbits,_ZN2at6native12_GLOBAL__N_122max_pool_backward_nchwIN3c104HalfEfiEEvPKT_PKlT1_SA_SA_SA_SA_SA_iiiiiiiiPS5_,comdat
	.globl	_ZN2at6native12_GLOBAL__N_122max_pool_backward_nchwIN3c104HalfEfiEEvPKT_PKlT1_SA_SA_SA_SA_SA_iiiiiiiiPS5_ ; -- Begin function _ZN2at6native12_GLOBAL__N_122max_pool_backward_nchwIN3c104HalfEfiEEvPKT_PKlT1_SA_SA_SA_SA_SA_iiiiiiiiPS5_
	.p2align	8
	.type	_ZN2at6native12_GLOBAL__N_122max_pool_backward_nchwIN3c104HalfEfiEEvPKT_PKlT1_SA_SA_SA_SA_SA_iiiiiiiiPS5_,@function
_ZN2at6native12_GLOBAL__N_122max_pool_backward_nchwIN3c104HalfEfiEEvPKT_PKlT1_SA_SA_SA_SA_SA_iiiiiiiiPS5_: ; @_ZN2at6native12_GLOBAL__N_122max_pool_backward_nchwIN3c104HalfEfiEEvPKT_PKlT1_SA_SA_SA_SA_SA_iiiiiiiiPS5_
; %bb.0:
	s_clause 0x1
	s_load_b32 s2, s[0:1], 0x5c
	s_load_b256 s[4:11], s[0:1], 0x10
	v_mov_b32_e32 v1, 0
	s_wait_kmcnt 0x0
	s_and_b32 s35, s2, 0xffff
	s_mul_i32 s2, s7, s6
	s_delay_alu instid0(VALU_DEP_1)
	v_mad_co_u64_u32 v[0:1], null, s35, ttmp9, v[0:1]
	s_ashr_i32 s3, s2, 31
	s_mov_b32 s6, exec_lo
	v_cmpx_gt_i64_e64 s[2:3], v[0:1]
	s_cbranch_execz .LBB23_23
; %bb.1:
	s_load_b256 s[12:19], s[0:1], 0x30
	s_add_co_i32 s10, s10, -1
	s_add_co_i32 s11, s11, -1
	s_and_b32 s6, ttmp7, 0xffff
	s_wait_kmcnt 0x0
	s_add_nc_u64 s[18:19], s[0:1], 0x50
	s_load_b128 s[20:23], s[0:1], 0x0
	s_load_b32 s36, s[18:19], 0x0
	s_mul_i32 s38, s6, s5
	s_mul_i32 s29, s9, s8
	s_mov_b32 s28, 0
	s_mul_i32 s16, s16, s10
	s_mul_i32 s17, s17, s11
	s_not_b32 s24, s16
	s_not_b32 s25, s17
	s_cmp_lt_i32 s6, s4
	s_load_b64 s[10:11], s[0:1], 0x48
	s_cselect_b32 s26, -1, 0
	s_lshr_b32 s27, ttmp7, 16
	s_wait_kmcnt 0x0
	s_mul_i32 s35, s36, s35
	s_cmp_lt_i32 s27, s5
	s_cselect_b32 s30, -1, 0
	s_abs_i32 s31, s7
	s_abs_i32 s33, s12
	;; [unrolled: 1-line block ×3, first 2 shown]
	s_cvt_f32_u32 s0, s31
	s_cvt_f32_u32 s1, s33
	s_wait_alu 0xfffe
	s_cvt_f32_u32 s37, s34
	s_sub_co_i32 s39, 0, s31
	v_rcp_iflag_f32_e32 v2, s0
	v_rcp_iflag_f32_e32 v3, s1
	;; [unrolled: 1-line block ×3, first 2 shown]
	s_add_co_i32 s0, s27, s38
	s_sub_co_i32 s40, 0, s33
	s_sub_co_i32 s41, 0, s34
	s_ashr_i32 s36, s7, 31
	s_ashr_i32 s12, s12, 31
	;; [unrolled: 1-line block ×3, first 2 shown]
	s_delay_alu instid0(TRANS32_DEP_3) | instskip(NEXT) | instid1(TRANS32_DEP_2)
	v_readfirstlane_b32 s1, v2
	v_readfirstlane_b32 s37, v3
	s_delay_alu instid0(TRANS32_DEP_1)
	v_readfirstlane_b32 s38, v4
	s_mul_f32 s1, s1, 0x4f7ffffe
	s_mul_f32 s37, s37, 0x4f7ffffe
	;; [unrolled: 1-line block ×3, first 2 shown]
	s_wait_alu 0xfffe
	s_cvt_u32_f32 s1, s1
	s_cvt_u32_f32 s42, s37
	;; [unrolled: 1-line block ×3, first 2 shown]
	s_mul_i32 s37, s8, s0
	s_wait_alu 0xfffe
	s_mul_i32 s39, s39, s1
	s_mul_i32 s40, s40, s42
	;; [unrolled: 1-line block ×3, first 2 shown]
	s_mul_hi_u32 s0, s1, s39
	s_mul_hi_u32 s39, s42, s40
	s_mul_hi_u32 s40, s43, s41
	s_wait_alu 0xfffe
	s_add_co_i32 s38, s1, s0
	s_add_co_i32 s39, s42, s39
	;; [unrolled: 1-line block ×3, first 2 shown]
	s_mul_i32 s41, s29, s5
	s_branch .LBB23_3
.LBB23_2:                               ;   in Loop: Header=BB23_3 Depth=1
	v_add_co_u32 v0, vcc_lo, v0, s35
	s_wait_alu 0xfffd
	v_add_co_ci_u32_e64 v1, null, 0, v1, vcc_lo
	s_delay_alu instid0(VALU_DEP_1) | instskip(SKIP_1) | instid1(SALU_CYCLE_1)
	v_cmp_le_i64_e32 vcc_lo, s[2:3], v[0:1]
	s_or_b32 s28, vcc_lo, s28
	s_and_not1_b32 exec_lo, exec_lo, s28
	s_cbranch_execz .LBB23_23
.LBB23_3:                               ; =>This Loop Header: Depth=1
                                        ;     Child Loop BB23_10 Depth 2
                                        ;       Child Loop BB23_14 Depth 3
                                        ;         Child Loop BB23_18 Depth 4
                                        ;           Child Loop BB23_21 Depth 5
	v_sub_nc_u32_e32 v2, 0, v0
	v_mov_b32_e32 v6, 0
	s_mov_b32 s0, exec_lo
	s_delay_alu instid0(VALU_DEP_2) | instskip(NEXT) | instid1(VALU_DEP_1)
	v_max_i32_e32 v2, v0, v2
	v_mul_hi_u32 v3, v2, s38
	s_delay_alu instid0(VALU_DEP_1) | instskip(NEXT) | instid1(VALU_DEP_1)
	v_mul_lo_u32 v4, v3, s31
	v_sub_nc_u32_e32 v2, v2, v4
	v_add_nc_u32_e32 v4, 1, v3
	s_delay_alu instid0(VALU_DEP_2) | instskip(SKIP_2) | instid1(VALU_DEP_2)
	v_subrev_nc_u32_e32 v5, s31, v2
	v_cmp_le_u32_e32 vcc_lo, s31, v2
	s_wait_alu 0xfffd
	v_dual_cndmask_b32 v3, v3, v4 :: v_dual_cndmask_b32 v2, v2, v5
	v_ashrrev_i32_e32 v4, 31, v0
	s_delay_alu instid0(VALU_DEP_2) | instskip(NEXT) | instid1(VALU_DEP_3)
	v_add_nc_u32_e32 v5, 1, v3
	v_cmp_le_u32_e32 vcc_lo, s31, v2
	s_delay_alu instid0(VALU_DEP_3) | instskip(SKIP_1) | instid1(VALU_DEP_3)
	v_xor_b32_e32 v4, s36, v4
	s_wait_alu 0xfffd
	v_cndmask_b32_e32 v2, v3, v5, vcc_lo
	s_delay_alu instid0(VALU_DEP_1) | instskip(NEXT) | instid1(VALU_DEP_1)
	v_xor_b32_e32 v2, v2, v4
	v_sub_nc_u32_e32 v4, v2, v4
	s_delay_alu instid0(VALU_DEP_1) | instskip(NEXT) | instid1(VALU_DEP_1)
	v_dual_mov_b32 v2, 0 :: v_dual_add_nc_u32 v3, s14, v4
	v_cmpx_lt_i32_e64 s16, v3
	s_cbranch_execz .LBB23_5
; %bb.4:                                ;   in Loop: Header=BB23_3 Depth=1
	v_add_nc_u32_e32 v5, s24, v3
	s_delay_alu instid0(VALU_DEP_1) | instskip(NEXT) | instid1(VALU_DEP_1)
	v_sub_nc_u32_e32 v6, 0, v5
	v_max_i32_e32 v6, v5, v6
	s_delay_alu instid0(VALU_DEP_1) | instskip(NEXT) | instid1(VALU_DEP_1)
	v_mul_hi_u32 v7, v6, s39
	v_mul_lo_u32 v8, v7, s33
	s_delay_alu instid0(VALU_DEP_1) | instskip(SKIP_1) | instid1(VALU_DEP_2)
	v_sub_nc_u32_e32 v6, v6, v8
	v_add_nc_u32_e32 v8, 1, v7
	v_subrev_nc_u32_e32 v9, s33, v6
	v_cmp_le_u32_e32 vcc_lo, s33, v6
	s_wait_alu 0xfffd
	s_delay_alu instid0(VALU_DEP_2) | instskip(SKIP_1) | instid1(VALU_DEP_2)
	v_dual_cndmask_b32 v7, v7, v8 :: v_dual_cndmask_b32 v6, v6, v9
	v_ashrrev_i32_e32 v5, 31, v5
	v_add_nc_u32_e32 v8, 1, v7
	s_delay_alu instid0(VALU_DEP_3) | instskip(NEXT) | instid1(VALU_DEP_3)
	v_cmp_le_u32_e32 vcc_lo, s33, v6
	v_xor_b32_e32 v5, s12, v5
	s_wait_alu 0xfffd
	s_delay_alu instid0(VALU_DEP_3) | instskip(NEXT) | instid1(VALU_DEP_1)
	v_cndmask_b32_e32 v6, v7, v8, vcc_lo
	v_xor_b32_e32 v6, v6, v5
	s_delay_alu instid0(VALU_DEP_1) | instskip(NEXT) | instid1(VALU_DEP_1)
	v_sub_nc_u32_e32 v5, v6, v5
	v_add_nc_u32_e32 v6, 1, v5
.LBB23_5:                               ;   in Loop: Header=BB23_3 Depth=1
	s_wait_alu 0xfffe
	s_or_b32 exec_lo, exec_lo, s0
	v_mul_lo_u32 v4, v4, s7
	s_mov_b32 s0, exec_lo
	s_delay_alu instid0(VALU_DEP_1) | instskip(NEXT) | instid1(VALU_DEP_1)
	v_sub_nc_u32_e32 v4, v0, v4
	v_add_nc_u32_e32 v4, s15, v4
	s_delay_alu instid0(VALU_DEP_1)
	v_cmpx_lt_i32_e64 s17, v4
	s_cbranch_execz .LBB23_7
; %bb.6:                                ;   in Loop: Header=BB23_3 Depth=1
	v_add_nc_u32_e32 v2, s25, v4
	s_delay_alu instid0(VALU_DEP_1) | instskip(NEXT) | instid1(VALU_DEP_1)
	v_sub_nc_u32_e32 v5, 0, v2
	v_max_i32_e32 v5, v2, v5
	s_delay_alu instid0(VALU_DEP_1) | instskip(NEXT) | instid1(VALU_DEP_1)
	v_mul_hi_u32 v7, v5, s40
	v_mul_lo_u32 v8, v7, s34
	s_delay_alu instid0(VALU_DEP_1) | instskip(SKIP_1) | instid1(VALU_DEP_2)
	v_sub_nc_u32_e32 v5, v5, v8
	v_add_nc_u32_e32 v8, 1, v7
	v_subrev_nc_u32_e32 v9, s34, v5
	v_cmp_le_u32_e32 vcc_lo, s34, v5
	s_wait_alu 0xfffd
	s_delay_alu instid0(VALU_DEP_3) | instskip(NEXT) | instid1(VALU_DEP_3)
	v_cndmask_b32_e32 v7, v7, v8, vcc_lo
	v_cndmask_b32_e32 v5, v5, v9, vcc_lo
	v_ashrrev_i32_e32 v2, 31, v2
	s_delay_alu instid0(VALU_DEP_3) | instskip(NEXT) | instid1(VALU_DEP_3)
	v_add_nc_u32_e32 v8, 1, v7
	v_cmp_le_u32_e32 vcc_lo, s34, v5
	s_delay_alu instid0(VALU_DEP_3) | instskip(SKIP_1) | instid1(VALU_DEP_3)
	v_xor_b32_e32 v2, s13, v2
	s_wait_alu 0xfffd
	v_cndmask_b32_e32 v5, v7, v8, vcc_lo
	s_delay_alu instid0(VALU_DEP_1) | instskip(NEXT) | instid1(VALU_DEP_1)
	v_xor_b32_e32 v5, v5, v2
	v_sub_nc_u32_e32 v2, v5, v2
	s_delay_alu instid0(VALU_DEP_1)
	v_add_nc_u32_e32 v2, 1, v2
.LBB23_7:                               ;   in Loop: Header=BB23_3 Depth=1
	s_wait_alu 0xfffe
	s_or_b32 exec_lo, exec_lo, s0
	s_delay_alu instid0(SALU_CYCLE_1)
	s_and_not1_b32 vcc_lo, exec_lo, s26
	s_wait_alu 0xfffe
	s_cbranch_vccnz .LBB23_2
; %bb.8:                                ;   in Loop: Header=BB23_3 Depth=1
	v_sub_nc_u32_e32 v5, 0, v4
	v_sub_nc_u32_e32 v7, 0, v3
	s_load_b32 s42, s[18:19], 0x4
	s_mov_b32 s44, s6
	s_delay_alu instid0(VALU_DEP_2) | instskip(NEXT) | instid1(VALU_DEP_2)
	v_max_i32_e32 v5, v4, v5
	v_max_i32_e32 v7, v3, v7
	v_ashrrev_i32_e32 v4, 31, v4
	v_ashrrev_i32_e32 v3, 31, v3
	s_delay_alu instid0(VALU_DEP_4) | instskip(NEXT) | instid1(VALU_DEP_4)
	v_mul_hi_u32 v8, v5, s40
	v_mul_hi_u32 v9, v7, s39
	s_delay_alu instid0(VALU_DEP_4) | instskip(NEXT) | instid1(VALU_DEP_4)
	v_xor_b32_e32 v4, s13, v4
	v_xor_b32_e32 v3, s12, v3
	s_delay_alu instid0(VALU_DEP_4) | instskip(NEXT) | instid1(VALU_DEP_4)
	v_mul_lo_u32 v10, v8, s34
	v_mul_lo_u32 v11, v9, s33
	s_wait_kmcnt 0x0
	s_mul_i32 s43, s41, s42
	s_delay_alu instid0(VALU_DEP_2) | instskip(NEXT) | instid1(VALU_DEP_2)
	v_sub_nc_u32_e32 v5, v5, v10
	v_sub_nc_u32_e32 v7, v7, v11
	v_add_nc_u32_e32 v11, 1, v8
	s_delay_alu instid0(VALU_DEP_3) | instskip(NEXT) | instid1(VALU_DEP_3)
	v_cmp_le_u32_e64 s0, s34, v5
	v_subrev_nc_u32_e32 v13, s33, v7
	v_cmp_le_u32_e32 vcc_lo, s33, v7
	v_subrev_nc_u32_e32 v12, s34, v5
	s_wait_alu 0xf1ff
	v_cndmask_b32_e64 v8, v8, v11, s0
	s_wait_alu 0xfffd
	v_cndmask_b32_e32 v7, v7, v13, vcc_lo
	v_cndmask_b32_e64 v5, v5, v12, s0
	s_delay_alu instid0(VALU_DEP_3) | instskip(SKIP_1) | instid1(VALU_DEP_1)
	v_add_nc_u32_e32 v11, 1, v8
	v_add_nc_u32_e32 v10, 1, v9
	v_cndmask_b32_e32 v9, v9, v10, vcc_lo
	v_cmp_le_u32_e32 vcc_lo, s33, v7
	s_delay_alu instid0(VALU_DEP_2) | instskip(SKIP_1) | instid1(VALU_DEP_1)
	v_add_nc_u32_e32 v10, 1, v9
	s_wait_alu 0xfffd
	v_cndmask_b32_e32 v7, v9, v10, vcc_lo
	v_cmp_le_u32_e32 vcc_lo, s34, v5
	s_delay_alu instid0(VALU_DEP_2) | instskip(SKIP_2) | instid1(VALU_DEP_2)
	v_xor_b32_e32 v7, v7, v3
	s_wait_alu 0xfffd
	v_cndmask_b32_e32 v5, v8, v11, vcc_lo
	v_sub_nc_u32_e32 v3, v7, v3
	s_delay_alu instid0(VALU_DEP_2) | instskip(NEXT) | instid1(VALU_DEP_2)
	v_xor_b32_e32 v5, v5, v4
	v_add_nc_u32_e32 v3, 1, v3
	s_delay_alu instid0(VALU_DEP_2) | instskip(SKIP_1) | instid1(VALU_DEP_3)
	v_sub_nc_u32_e32 v4, v5, v4
	v_add_nc_u32_e32 v5, s37, v6
	v_min_i32_e32 v7, s8, v3
	s_delay_alu instid0(VALU_DEP_3) | instskip(NEXT) | instid1(VALU_DEP_2)
	v_add_nc_u32_e32 v4, 1, v4
	v_cmp_lt_i32_e64 s0, v6, v7
	s_delay_alu instid0(VALU_DEP_2) | instskip(SKIP_1) | instid1(VALU_DEP_2)
	v_min_i32_e32 v8, s9, v4
	v_mad_co_u64_u32 v[3:4], null, s9, v5, v[2:3]
	v_cmp_lt_i32_e64 s1, v2, v8
	s_branch .LBB23_10
.LBB23_9:                               ;   in Loop: Header=BB23_10 Depth=2
	s_delay_alu instid0(VALU_DEP_1) | instskip(SKIP_1) | instid1(SALU_CYCLE_1)
	v_add_nc_u32_e32 v3, s43, v3
	s_add_co_i32 s44, s42, s44
	s_cmp_ge_i32 s44, s4
	s_cbranch_scc1 .LBB23_2
.LBB23_10:                              ;   Parent Loop BB23_3 Depth=1
                                        ; =>  This Loop Header: Depth=2
                                        ;       Child Loop BB23_14 Depth 3
                                        ;         Child Loop BB23_18 Depth 4
                                        ;           Child Loop BB23_21 Depth 5
	s_and_not1_b32 vcc_lo, exec_lo, s30
	s_wait_alu 0xfffe
	s_cbranch_vccnz .LBB23_9
; %bb.11:                               ;   in Loop: Header=BB23_10 Depth=2
	s_load_b32 s45, s[18:19], 0x8
	s_delay_alu instid0(VALU_DEP_1)
	v_mov_b32_e32 v9, v3
	s_mul_i32 s46, s44, s5
	s_mov_b32 s48, s27
	s_wait_kmcnt 0x0
	s_mul_i32 s47, s29, s45
	s_branch .LBB23_14
.LBB23_12:                              ;   in Loop: Header=BB23_14 Depth=3
	s_or_b32 exec_lo, exec_lo, s50
	v_cvt_f16_f32_e32 v4, v10
.LBB23_13:                              ;   in Loop: Header=BB23_14 Depth=3
	s_wait_alu 0xfffe
	s_or_b32 exec_lo, exec_lo, s49
	s_add_co_i32 s49, s48, s46
	v_add_nc_u32_e32 v9, s47, v9
	s_wait_alu 0xfffe
	v_mad_co_u64_u32 v[10:11], null, s2, s49, v[0:1]
	s_add_co_i32 s48, s45, s48
	s_wait_alu 0xfffe
	s_cmp_ge_i32 s48, s5
	v_ashrrev_i32_e32 v11, 31, v10
	s_delay_alu instid0(VALU_DEP_1) | instskip(NEXT) | instid1(VALU_DEP_1)
	v_lshlrev_b64_e32 v[10:11], 1, v[10:11]
	v_add_co_u32 v10, vcc_lo, s10, v10
	s_wait_alu 0xfffd
	s_delay_alu instid0(VALU_DEP_2)
	v_add_co_ci_u32_e64 v11, null, s11, v11, vcc_lo
	global_store_b16 v[10:11], v4, off
	s_cbranch_scc1 .LBB23_9
.LBB23_14:                              ;   Parent Loop BB23_3 Depth=1
                                        ;     Parent Loop BB23_10 Depth=2
                                        ; =>    This Loop Header: Depth=3
                                        ;         Child Loop BB23_18 Depth 4
                                        ;           Child Loop BB23_21 Depth 5
	v_mov_b32_e32 v4, 0
	s_and_saveexec_b32 s49, s0
	s_cbranch_execz .LBB23_13
; %bb.15:                               ;   in Loop: Header=BB23_14 Depth=3
	v_dual_mov_b32 v10, 0 :: v_dual_mov_b32 v11, v9
	v_mov_b32_e32 v12, v6
	s_mov_b32 s50, 0
	s_branch .LBB23_18
.LBB23_16:                              ;   in Loop: Header=BB23_18 Depth=4
	s_or_b32 exec_lo, exec_lo, s52
.LBB23_17:                              ;   in Loop: Header=BB23_18 Depth=4
	s_delay_alu instid0(SALU_CYCLE_1) | instskip(SKIP_2) | instid1(VALU_DEP_2)
	s_or_b32 exec_lo, exec_lo, s51
	v_add_nc_u32_e32 v12, 1, v12
	v_add_nc_u32_e32 v11, s9, v11
	v_cmp_ge_i32_e32 vcc_lo, v12, v7
	s_or_b32 s50, vcc_lo, s50
	s_delay_alu instid0(SALU_CYCLE_1)
	s_and_not1_b32 exec_lo, exec_lo, s50
	s_cbranch_execz .LBB23_12
.LBB23_18:                              ;   Parent Loop BB23_3 Depth=1
                                        ;     Parent Loop BB23_10 Depth=2
                                        ;       Parent Loop BB23_14 Depth=3
                                        ; =>      This Loop Header: Depth=4
                                        ;           Child Loop BB23_21 Depth 5
	s_and_saveexec_b32 s51, s1
	s_cbranch_execz .LBB23_17
; %bb.19:                               ;   in Loop: Header=BB23_18 Depth=4
	v_dual_mov_b32 v4, v11 :: v_dual_mov_b32 v13, v2
	s_mov_b32 s52, 0
	s_branch .LBB23_21
.LBB23_20:                              ;   in Loop: Header=BB23_21 Depth=5
	s_or_b32 exec_lo, exec_lo, s53
	v_add_nc_u32_e32 v13, 1, v13
	v_add_nc_u32_e32 v4, 1, v4
	s_delay_alu instid0(VALU_DEP_2) | instskip(SKIP_1) | instid1(SALU_CYCLE_1)
	v_cmp_ge_i32_e32 vcc_lo, v13, v8
	s_or_b32 s52, vcc_lo, s52
	s_and_not1_b32 exec_lo, exec_lo, s52
	s_cbranch_execz .LBB23_16
.LBB23_21:                              ;   Parent Loop BB23_3 Depth=1
                                        ;     Parent Loop BB23_10 Depth=2
                                        ;       Parent Loop BB23_14 Depth=3
                                        ;         Parent Loop BB23_18 Depth=4
                                        ; =>        This Inner Loop Header: Depth=5
	s_delay_alu instid0(VALU_DEP_1) | instskip(SKIP_1) | instid1(VALU_DEP_1)
	v_ashrrev_i32_e32 v5, 31, v4
	s_mov_b32 s53, exec_lo
	v_lshlrev_b64_e32 v[14:15], 3, v[4:5]
	s_delay_alu instid0(VALU_DEP_1) | instskip(SKIP_1) | instid1(VALU_DEP_2)
	v_add_co_u32 v14, vcc_lo, s22, v14
	s_wait_alu 0xfffd
	v_add_co_ci_u32_e64 v15, null, s23, v15, vcc_lo
	global_load_b64 v[14:15], v[14:15], off
	s_wait_loadcnt 0x0
	v_cmpx_eq_u64_e64 v[14:15], v[0:1]
	s_cbranch_execz .LBB23_20
; %bb.22:                               ;   in Loop: Header=BB23_21 Depth=5
	v_lshlrev_b64_e32 v[14:15], 1, v[4:5]
	s_delay_alu instid0(VALU_DEP_1) | instskip(SKIP_1) | instid1(VALU_DEP_2)
	v_add_co_u32 v14, vcc_lo, s20, v14
	s_wait_alu 0xfffd
	v_add_co_ci_u32_e64 v15, null, s21, v15, vcc_lo
	global_load_u16 v5, v[14:15], off
	s_wait_loadcnt 0x0
	v_cvt_f32_f16_e32 v5, v5
	s_delay_alu instid0(VALU_DEP_1)
	v_add_f32_e32 v10, v10, v5
	s_branch .LBB23_20
.LBB23_23:
	s_endpgm
	.section	.rodata,"a",@progbits
	.p2align	6, 0x0
	.amdhsa_kernel _ZN2at6native12_GLOBAL__N_122max_pool_backward_nchwIN3c104HalfEfiEEvPKT_PKlT1_SA_SA_SA_SA_SA_iiiiiiiiPS5_
		.amdhsa_group_segment_fixed_size 0
		.amdhsa_private_segment_fixed_size 0
		.amdhsa_kernarg_size 336
		.amdhsa_user_sgpr_count 2
		.amdhsa_user_sgpr_dispatch_ptr 0
		.amdhsa_user_sgpr_queue_ptr 0
		.amdhsa_user_sgpr_kernarg_segment_ptr 1
		.amdhsa_user_sgpr_dispatch_id 0
		.amdhsa_user_sgpr_private_segment_size 0
		.amdhsa_wavefront_size32 1
		.amdhsa_uses_dynamic_stack 0
		.amdhsa_enable_private_segment 0
		.amdhsa_system_sgpr_workgroup_id_x 1
		.amdhsa_system_sgpr_workgroup_id_y 1
		.amdhsa_system_sgpr_workgroup_id_z 1
		.amdhsa_system_sgpr_workgroup_info 0
		.amdhsa_system_vgpr_workitem_id 0
		.amdhsa_next_free_vgpr 16
		.amdhsa_next_free_sgpr 54
		.amdhsa_reserve_vcc 1
		.amdhsa_float_round_mode_32 0
		.amdhsa_float_round_mode_16_64 0
		.amdhsa_float_denorm_mode_32 3
		.amdhsa_float_denorm_mode_16_64 3
		.amdhsa_fp16_overflow 0
		.amdhsa_workgroup_processor_mode 1
		.amdhsa_memory_ordered 1
		.amdhsa_forward_progress 1
		.amdhsa_inst_pref_size 13
		.amdhsa_round_robin_scheduling 0
		.amdhsa_exception_fp_ieee_invalid_op 0
		.amdhsa_exception_fp_denorm_src 0
		.amdhsa_exception_fp_ieee_div_zero 0
		.amdhsa_exception_fp_ieee_overflow 0
		.amdhsa_exception_fp_ieee_underflow 0
		.amdhsa_exception_fp_ieee_inexact 0
		.amdhsa_exception_int_div_zero 0
	.end_amdhsa_kernel
	.section	.text._ZN2at6native12_GLOBAL__N_122max_pool_backward_nchwIN3c104HalfEfiEEvPKT_PKlT1_SA_SA_SA_SA_SA_iiiiiiiiPS5_,"axG",@progbits,_ZN2at6native12_GLOBAL__N_122max_pool_backward_nchwIN3c104HalfEfiEEvPKT_PKlT1_SA_SA_SA_SA_SA_iiiiiiiiPS5_,comdat
.Lfunc_end23:
	.size	_ZN2at6native12_GLOBAL__N_122max_pool_backward_nchwIN3c104HalfEfiEEvPKT_PKlT1_SA_SA_SA_SA_SA_iiiiiiiiPS5_, .Lfunc_end23-_ZN2at6native12_GLOBAL__N_122max_pool_backward_nchwIN3c104HalfEfiEEvPKT_PKlT1_SA_SA_SA_SA_SA_iiiiiiiiPS5_
                                        ; -- End function
	.set _ZN2at6native12_GLOBAL__N_122max_pool_backward_nchwIN3c104HalfEfiEEvPKT_PKlT1_SA_SA_SA_SA_SA_iiiiiiiiPS5_.num_vgpr, 16
	.set _ZN2at6native12_GLOBAL__N_122max_pool_backward_nchwIN3c104HalfEfiEEvPKT_PKlT1_SA_SA_SA_SA_SA_iiiiiiiiPS5_.num_agpr, 0
	.set _ZN2at6native12_GLOBAL__N_122max_pool_backward_nchwIN3c104HalfEfiEEvPKT_PKlT1_SA_SA_SA_SA_SA_iiiiiiiiPS5_.numbered_sgpr, 54
	.set _ZN2at6native12_GLOBAL__N_122max_pool_backward_nchwIN3c104HalfEfiEEvPKT_PKlT1_SA_SA_SA_SA_SA_iiiiiiiiPS5_.num_named_barrier, 0
	.set _ZN2at6native12_GLOBAL__N_122max_pool_backward_nchwIN3c104HalfEfiEEvPKT_PKlT1_SA_SA_SA_SA_SA_iiiiiiiiPS5_.private_seg_size, 0
	.set _ZN2at6native12_GLOBAL__N_122max_pool_backward_nchwIN3c104HalfEfiEEvPKT_PKlT1_SA_SA_SA_SA_SA_iiiiiiiiPS5_.uses_vcc, 1
	.set _ZN2at6native12_GLOBAL__N_122max_pool_backward_nchwIN3c104HalfEfiEEvPKT_PKlT1_SA_SA_SA_SA_SA_iiiiiiiiPS5_.uses_flat_scratch, 0
	.set _ZN2at6native12_GLOBAL__N_122max_pool_backward_nchwIN3c104HalfEfiEEvPKT_PKlT1_SA_SA_SA_SA_SA_iiiiiiiiPS5_.has_dyn_sized_stack, 0
	.set _ZN2at6native12_GLOBAL__N_122max_pool_backward_nchwIN3c104HalfEfiEEvPKT_PKlT1_SA_SA_SA_SA_SA_iiiiiiiiPS5_.has_recursion, 0
	.set _ZN2at6native12_GLOBAL__N_122max_pool_backward_nchwIN3c104HalfEfiEEvPKT_PKlT1_SA_SA_SA_SA_SA_iiiiiiiiPS5_.has_indirect_call, 0
	.section	.AMDGPU.csdata,"",@progbits
; Kernel info:
; codeLenInByte = 1596
; TotalNumSgprs: 56
; NumVgprs: 16
; ScratchSize: 0
; MemoryBound: 0
; FloatMode: 240
; IeeeMode: 1
; LDSByteSize: 0 bytes/workgroup (compile time only)
; SGPRBlocks: 0
; VGPRBlocks: 1
; NumSGPRsForWavesPerEU: 56
; NumVGPRsForWavesPerEU: 16
; Occupancy: 16
; WaveLimiterHint : 0
; COMPUTE_PGM_RSRC2:SCRATCH_EN: 0
; COMPUTE_PGM_RSRC2:USER_SGPR: 2
; COMPUTE_PGM_RSRC2:TRAP_HANDLER: 0
; COMPUTE_PGM_RSRC2:TGID_X_EN: 1
; COMPUTE_PGM_RSRC2:TGID_Y_EN: 1
; COMPUTE_PGM_RSRC2:TGID_Z_EN: 1
; COMPUTE_PGM_RSRC2:TIDIG_COMP_CNT: 0
	.section	.text._ZN2at6native12_GLOBAL__N_122max_pool_backward_nchwIN3c104HalfEflEEvPKT_PKlT1_SA_SA_SA_SA_SA_iiiiiiiiPS5_,"axG",@progbits,_ZN2at6native12_GLOBAL__N_122max_pool_backward_nchwIN3c104HalfEflEEvPKT_PKlT1_SA_SA_SA_SA_SA_iiiiiiiiPS5_,comdat
	.globl	_ZN2at6native12_GLOBAL__N_122max_pool_backward_nchwIN3c104HalfEflEEvPKT_PKlT1_SA_SA_SA_SA_SA_iiiiiiiiPS5_ ; -- Begin function _ZN2at6native12_GLOBAL__N_122max_pool_backward_nchwIN3c104HalfEflEEvPKT_PKlT1_SA_SA_SA_SA_SA_iiiiiiiiPS5_
	.p2align	8
	.type	_ZN2at6native12_GLOBAL__N_122max_pool_backward_nchwIN3c104HalfEflEEvPKT_PKlT1_SA_SA_SA_SA_SA_iiiiiiiiPS5_,@function
_ZN2at6native12_GLOBAL__N_122max_pool_backward_nchwIN3c104HalfEflEEvPKT_PKlT1_SA_SA_SA_SA_SA_iiiiiiiiPS5_: ; @_ZN2at6native12_GLOBAL__N_122max_pool_backward_nchwIN3c104HalfEflEEvPKT_PKlT1_SA_SA_SA_SA_SA_iiiiiiiiPS5_
; %bb.0:
	s_clause 0x1
	s_load_b32 s2, s[0:1], 0x74
	s_load_b512 s[4:19], s[0:1], 0x0
	v_mov_b32_e32 v2, 0
	s_mov_b32 s3, exec_lo
	s_delay_alu instid0(VALU_DEP_1) | instskip(SKIP_3) | instid1(VALU_DEP_1)
	v_mov_b32_e32 v1, v2
	s_wait_kmcnt 0x0
	s_and_b32 s2, s2, 0xffff
	s_mul_u64 s[12:13], s[14:15], s[12:13]
	v_mad_co_u64_u32 v[0:1], null, s2, ttmp9, v[0:1]
	s_delay_alu instid0(VALU_DEP_1)
	v_cmpx_gt_i64_e64 s[12:13], v[0:1]
	s_cbranch_execz .LBB24_43
; %bb.1:
	s_load_b256 s[20:27], s[0:1], 0x40
	s_add_nc_u64 s[28:29], s[0:1], 0x68
	s_load_b64 s[30:31], s[0:1], 0x60
	s_load_b32 s0, s[28:29], 0x0
	v_cvt_f32_u32_e32 v3, s14
	s_mov_b32 s35, 0
	s_and_b32 s34, ttmp7, 0xffff
	s_lshr_b32 s36, ttmp7, 16
	s_mov_b32 s37, s35
	v_rcp_iflag_f32_e32 v3, v3
	v_cmp_gt_i64_e64 s75, s[8:9], s[34:35]
	v_cmp_gt_i64_e64 s76, s[10:11], s[36:37]
	s_mov_b64 s[38:39], s[34:35]
	s_lshl_b64 s[46:47], s[18:19], 3
	s_lshl_b64 s[52:53], s[18:19], 1
	s_ashr_i32 s54, s15, 31
	s_mov_b32 s78, 0
	s_wait_kmcnt 0x0
	s_mov_b32 s40, s22
	s_add_co_i32 s1, s20, -1
	v_cvt_f32_u32_e32 v4, s40
	s_add_co_i32 s3, s21, -1
	s_wait_alu 0xfffe
	s_mul_i32 s1, s26, s1
	s_mul_i32 s3, s27, s3
	s_ashr_i32 s33, s24, 31
	v_rcp_iflag_f32_e32 v4, v4
	v_mul_f32_e32 v3, 0x4f7ffffe, v3
	s_mov_b32 s72, s24
	s_ashr_i32 s41, s22, 31
	s_wait_alu 0xfffe
	s_add_co_i32 s22, s1, 1
	s_add_co_i32 s24, s3, 1
	s_mul_i32 s77, s0, s2
	s_mul_u64 s[0:1], s[10:11], s[34:35]
	s_mul_u64 s[2:3], s[18:19], s[16:17]
	s_wait_alu 0xfffe
	s_add_nc_u64 s[0:1], s[0:1], s[36:37]
	v_mul_f32_e32 v4, 0x4f7ffffe, v4
	v_cvt_u32_f32_e32 v32, v3
	s_mul_u64 s[48:49], s[2:3], s[10:11]
	s_ashr_i32 s73, s25, 31
	s_mov_b32 s74, s25
	v_cvt_u32_f32_e32 v33, v4
	s_ashr_i32 s21, s23, 31
	s_mov_b32 s20, s23
	s_ashr_i32 s23, s22, 31
	s_ashr_i32 s25, s24, 31
	s_wait_alu 0xfffe
	s_mul_u64 s[26:27], s[16:17], s[0:1]
	s_lshl_b64 s[42:43], s[48:49], 3
	s_lshl_b64 s[44:45], s[2:3], 3
	;; [unrolled: 1-line block ×4, first 2 shown]
	s_branch .LBB24_3
.LBB24_2:                               ;   in Loop: Header=BB24_3 Depth=1
	v_add_co_u32 v0, vcc_lo, v0, s77
	s_wait_alu 0xfffd
	v_add_co_ci_u32_e64 v1, null, 0, v1, vcc_lo
	s_delay_alu instid0(VALU_DEP_1) | instskip(SKIP_1) | instid1(SALU_CYCLE_1)
	v_cmp_le_i64_e32 vcc_lo, s[12:13], v[0:1]
	s_or_b32 s78, vcc_lo, s78
	s_and_not1_b32 exec_lo, exec_lo, s78
	s_cbranch_execz .LBB24_43
.LBB24_3:                               ; =>This Loop Header: Depth=1
                                        ;     Child Loop BB24_30 Depth 2
                                        ;       Child Loop BB24_34 Depth 3
                                        ;         Child Loop BB24_38 Depth 4
                                        ;           Child Loop BB24_41 Depth 5
	v_or_b32_e32 v3, s15, v1
                                        ; implicit-def: $vgpr8_vgpr9
	s_mov_b32 s0, exec_lo
	s_delay_alu instid0(VALU_DEP_1)
	v_cmpx_ne_u64_e32 0, v[2:3]
	s_wait_alu 0xfffe
	s_xor_b32 s1, exec_lo, s0
	s_cbranch_execz .LBB24_5
; %bb.4:                                ;   in Loop: Header=BB24_3 Depth=1
	s_mov_b32 s55, s54
	v_ashrrev_i32_e32 v9, 31, v1
	s_wait_alu 0xfffe
	s_add_nc_u64 s[2:3], s[14:15], s[54:55]
	s_wait_alu 0xfffe
	s_xor_b64 s[2:3], s[2:3], s[54:55]
	v_add_co_u32 v3, vcc_lo, v0, v9
	s_wait_alu 0xfffe
	s_cvt_f32_u32 s0, s2
	s_cvt_f32_u32 s34, s3
	s_sub_nc_u64 s[58:59], 0, s[2:3]
	s_wait_alu 0xfffd
	v_add_co_ci_u32_e64 v4, null, v1, v9, vcc_lo
	s_wait_alu 0xfffe
	s_fmamk_f32 s0, s34, 0x4f800000, s0
	v_xor_b32_e32 v10, v3, v9
	s_delay_alu instid0(VALU_DEP_2) | instskip(SKIP_2) | instid1(TRANS32_DEP_1)
	v_xor_b32_e32 v11, v4, v9
	s_wait_alu 0xfffe
	v_s_rcp_f32 s0, s0
	s_mul_f32 s0, s0, 0x5f7ffffc
	s_wait_alu 0xfffe
	s_delay_alu instid0(SALU_CYCLE_2) | instskip(SKIP_1) | instid1(SALU_CYCLE_2)
	s_mul_f32 s34, s0, 0x2f800000
	s_wait_alu 0xfffe
	s_trunc_f32 s34, s34
	s_wait_alu 0xfffe
	s_delay_alu instid0(SALU_CYCLE_2) | instskip(SKIP_2) | instid1(SALU_CYCLE_1)
	s_fmamk_f32 s0, s34, 0xcf800000, s0
	s_cvt_u32_f32 s57, s34
	s_wait_alu 0xfffe
	s_cvt_u32_f32 s56, s0
	s_wait_alu 0xfffe
	s_delay_alu instid0(SALU_CYCLE_2)
	s_mul_u64 s[60:61], s[58:59], s[56:57]
	s_wait_alu 0xfffe
	s_mul_hi_u32 s63, s56, s61
	s_mul_i32 s62, s56, s61
	s_mul_hi_u32 s34, s56, s60
	s_mul_i32 s55, s57, s60
	s_wait_alu 0xfffe
	s_add_nc_u64 s[62:63], s[34:35], s[62:63]
	s_mul_hi_u32 s0, s57, s60
	s_mul_hi_u32 s64, s57, s61
	s_wait_alu 0xfffe
	s_add_co_u32 s34, s62, s55
	s_add_co_ci_u32 s34, s63, s0
	s_mul_i32 s60, s57, s61
	s_add_co_ci_u32 s61, s64, 0
	s_wait_alu 0xfffe
	s_add_nc_u64 s[60:61], s[34:35], s[60:61]
	s_wait_alu 0xfffe
	s_add_co_u32 s56, s56, s60
	s_cselect_b32 s0, -1, 0
	s_wait_alu 0xfffe
	s_cmp_lg_u32 s0, 0
	s_add_co_ci_u32 s57, s57, s61
	s_wait_alu 0xfffe
	s_mul_u64 s[58:59], s[58:59], s[56:57]
	s_wait_alu 0xfffe
	s_mul_hi_u32 s61, s56, s59
	s_mul_i32 s60, s56, s59
	s_mul_hi_u32 s34, s56, s58
	s_mul_i32 s55, s57, s58
	s_wait_alu 0xfffe
	s_add_nc_u64 s[60:61], s[34:35], s[60:61]
	s_mul_hi_u32 s0, s57, s58
	s_mul_hi_u32 s62, s57, s59
	s_wait_alu 0xfffe
	s_add_co_u32 s34, s60, s55
	s_add_co_ci_u32 s34, s61, s0
	s_mul_i32 s58, s57, s59
	s_add_co_ci_u32 s59, s62, 0
	s_wait_alu 0xfffe
	s_add_nc_u64 s[58:59], s[34:35], s[58:59]
	s_wait_alu 0xfffe
	s_add_co_u32 s0, s56, s58
	s_cselect_b32 s34, -1, 0
	s_wait_alu 0xfffe
	v_mul_hi_u32 v12, v10, s0
	s_cmp_lg_u32 s34, 0
	v_mad_co_u64_u32 v[5:6], null, v11, s0, 0
	s_add_co_ci_u32 s34, s57, s59
	s_wait_alu 0xfffe
	v_mad_co_u64_u32 v[3:4], null, v10, s34, 0
	v_mad_co_u64_u32 v[7:8], null, v11, s34, 0
	s_delay_alu instid0(VALU_DEP_2) | instskip(SKIP_1) | instid1(VALU_DEP_3)
	v_add_co_u32 v3, vcc_lo, v12, v3
	s_wait_alu 0xfffd
	v_add_co_ci_u32_e64 v4, null, 0, v4, vcc_lo
	s_delay_alu instid0(VALU_DEP_2) | instskip(SKIP_1) | instid1(VALU_DEP_2)
	v_add_co_u32 v3, vcc_lo, v3, v5
	s_wait_alu 0xfffd
	v_add_co_ci_u32_e32 v3, vcc_lo, v4, v6, vcc_lo
	s_wait_alu 0xfffd
	v_add_co_ci_u32_e32 v4, vcc_lo, 0, v8, vcc_lo
	s_delay_alu instid0(VALU_DEP_2) | instskip(SKIP_1) | instid1(VALU_DEP_2)
	v_add_co_u32 v5, vcc_lo, v3, v7
	s_wait_alu 0xfffd
	v_add_co_ci_u32_e64 v6, null, 0, v4, vcc_lo
	s_delay_alu instid0(VALU_DEP_2) | instskip(SKIP_1) | instid1(VALU_DEP_3)
	v_mul_lo_u32 v7, s3, v5
	v_mad_co_u64_u32 v[3:4], null, s2, v5, 0
	v_mul_lo_u32 v8, s2, v6
	s_delay_alu instid0(VALU_DEP_2) | instskip(NEXT) | instid1(VALU_DEP_2)
	v_sub_co_u32 v3, vcc_lo, v10, v3
	v_add3_u32 v4, v4, v8, v7
	v_add_co_u32 v8, s0, v5, 2
	s_wait_alu 0xf1ff
	v_add_co_ci_u32_e64 v10, null, 0, v6, s0
	s_delay_alu instid0(VALU_DEP_3) | instskip(SKIP_3) | instid1(VALU_DEP_3)
	v_sub_nc_u32_e32 v7, v11, v4
	v_sub_co_u32 v12, s0, v3, s2
	s_wait_alu 0xfffd
	v_sub_co_ci_u32_e64 v4, null, v11, v4, vcc_lo
	v_subrev_co_ci_u32_e64 v7, null, s3, v7, vcc_lo
	s_delay_alu instid0(VALU_DEP_3) | instskip(SKIP_1) | instid1(VALU_DEP_2)
	v_cmp_le_u32_e32 vcc_lo, s2, v12
	s_wait_alu 0xf1ff
	v_subrev_co_ci_u32_e64 v7, null, 0, v7, s0
	s_wait_alu 0xfffd
	v_cndmask_b32_e64 v11, 0, -1, vcc_lo
	s_delay_alu instid0(VALU_DEP_2)
	v_cmp_le_u32_e32 vcc_lo, s3, v7
	s_wait_alu 0xfffd
	v_cndmask_b32_e64 v12, 0, -1, vcc_lo
	v_cmp_le_u32_e32 vcc_lo, s2, v3
	s_wait_alu 0xfffd
	v_cndmask_b32_e64 v3, 0, -1, vcc_lo
	;; [unrolled: 3-line block ×3, first 2 shown]
	v_cmp_eq_u32_e32 vcc_lo, s3, v7
	s_wait_alu 0xfffd
	v_cndmask_b32_e32 v7, v12, v11, vcc_lo
	v_add_co_u32 v11, vcc_lo, v5, 1
	s_wait_alu 0xfffd
	v_add_co_ci_u32_e64 v12, null, 0, v6, vcc_lo
	v_cmp_eq_u32_e32 vcc_lo, s3, v4
	s_wait_alu 0xfffd
	v_cndmask_b32_e32 v3, v13, v3, vcc_lo
	v_cmp_ne_u32_e32 vcc_lo, 0, v7
	v_xor_b32_e32 v7, s54, v9
	s_wait_alu 0xfffd
	v_cndmask_b32_e32 v4, v12, v10, vcc_lo
	v_cmp_ne_u32_e64 s0, 0, v3
	v_cndmask_b32_e32 v3, v11, v8, vcc_lo
	s_wait_alu 0xf1ff
	s_delay_alu instid0(VALU_DEP_2) | instskip(NEXT) | instid1(VALU_DEP_2)
	v_cndmask_b32_e64 v4, v6, v4, s0
	v_cndmask_b32_e64 v3, v5, v3, s0
	s_delay_alu instid0(VALU_DEP_2) | instskip(NEXT) | instid1(VALU_DEP_2)
	v_xor_b32_e32 v4, v4, v7
	v_xor_b32_e32 v3, v3, v7
	s_delay_alu instid0(VALU_DEP_1) | instskip(SKIP_1) | instid1(VALU_DEP_3)
	v_sub_co_u32 v8, vcc_lo, v3, v7
	s_wait_alu 0xfffd
	v_sub_co_ci_u32_e64 v9, null, v4, v7, vcc_lo
.LBB24_5:                               ;   in Loop: Header=BB24_3 Depth=1
	s_wait_alu 0xfffe
	s_and_not1_saveexec_b32 s0, s1
	s_cbranch_execz .LBB24_7
; %bb.6:                                ;   in Loop: Header=BB24_3 Depth=1
	s_sub_co_i32 s1, 0, s14
	v_mov_b32_e32 v9, v2
	s_wait_alu 0xfffe
	v_mul_lo_u32 v3, s1, v32
	s_delay_alu instid0(VALU_DEP_1) | instskip(NEXT) | instid1(VALU_DEP_1)
	v_mul_hi_u32 v3, v32, v3
	v_add_nc_u32_e32 v3, v32, v3
	s_delay_alu instid0(VALU_DEP_1) | instskip(NEXT) | instid1(VALU_DEP_1)
	v_mul_hi_u32 v3, v0, v3
	v_mul_lo_u32 v4, v3, s14
	s_delay_alu instid0(VALU_DEP_1) | instskip(NEXT) | instid1(VALU_DEP_1)
	v_sub_nc_u32_e32 v4, v0, v4
	v_subrev_nc_u32_e32 v6, s14, v4
	v_cmp_le_u32_e32 vcc_lo, s14, v4
	s_wait_alu 0xfffd
	s_delay_alu instid0(VALU_DEP_2) | instskip(NEXT) | instid1(VALU_DEP_1)
	v_dual_cndmask_b32 v4, v4, v6 :: v_dual_add_nc_u32 v5, 1, v3
	v_cndmask_b32_e32 v3, v3, v5, vcc_lo
	s_delay_alu instid0(VALU_DEP_2) | instskip(NEXT) | instid1(VALU_DEP_2)
	v_cmp_le_u32_e32 vcc_lo, s14, v4
	v_add_nc_u32_e32 v5, 1, v3
	s_wait_alu 0xfffd
	s_delay_alu instid0(VALU_DEP_1)
	v_cndmask_b32_e32 v8, v3, v5, vcc_lo
.LBB24_7:                               ;   in Loop: Header=BB24_3 Depth=1
	s_wait_alu 0xfffe
	s_or_b32 exec_lo, exec_lo, s0
	s_delay_alu instid0(VALU_DEP_1)
	v_add_co_u32 v10, vcc_lo, v8, s72
	v_mov_b32_e32 v4, 0
	s_wait_alu 0xfffd
	v_add_co_ci_u32_e64 v11, null, s33, v9, vcc_lo
	v_mov_b32_e32 v5, 0
	s_mov_b32 s1, exec_lo
	s_delay_alu instid0(VALU_DEP_2)
	v_cmpx_le_i64_e64 s[22:23], v[10:11]
	s_cbranch_execz .LBB24_13
; %bb.8:                                ;   in Loop: Header=BB24_3 Depth=1
	v_sub_co_u32 v6, vcc_lo, v10, s22
	s_wait_alu 0xfffd
	v_subrev_co_ci_u32_e64 v7, null, s23, v11, vcc_lo
                                        ; implicit-def: $vgpr4_vgpr5
	s_mov_b32 s0, exec_lo
	v_or_b32_e32 v3, s41, v7
	s_delay_alu instid0(VALU_DEP_1)
	v_cmpx_ne_u64_e32 0, v[2:3]
	s_wait_alu 0xfffe
	s_xor_b32 s55, exec_lo, s0
	s_cbranch_execz .LBB24_10
; %bb.9:                                ;   in Loop: Header=BB24_3 Depth=1
	s_ashr_i32 s2, s41, 31
	v_ashrrev_i32_e32 v14, 31, v7
	s_wait_alu 0xfffe
	s_mov_b32 s3, s2
	s_wait_alu 0xfffe
	s_add_nc_u64 s[56:57], s[40:41], s[2:3]
	v_add_co_u32 v3, vcc_lo, v6, v14
	s_wait_alu 0xfffe
	s_xor_b64 s[56:57], s[56:57], s[2:3]
	s_wait_alu 0xfffd
	v_add_co_ci_u32_e64 v4, null, v7, v14, vcc_lo
	s_wait_alu 0xfffe
	s_cvt_f32_u32 s0, s56
	s_cvt_f32_u32 s3, s57
	s_sub_nc_u64 s[60:61], 0, s[56:57]
	v_xor_b32_e32 v7, v3, v14
	v_xor_b32_e32 v15, v4, v14
	s_wait_alu 0xfffe
	s_fmamk_f32 s0, s3, 0x4f800000, s0
	s_wait_alu 0xfffe
	s_delay_alu instid0(SALU_CYCLE_2) | instskip(NEXT) | instid1(TRANS32_DEP_1)
	v_s_rcp_f32 s0, s0
	s_mul_f32 s0, s0, 0x5f7ffffc
	s_wait_alu 0xfffe
	s_delay_alu instid0(SALU_CYCLE_2) | instskip(SKIP_1) | instid1(SALU_CYCLE_2)
	s_mul_f32 s3, s0, 0x2f800000
	s_wait_alu 0xfffe
	s_trunc_f32 s3, s3
	s_wait_alu 0xfffe
	s_delay_alu instid0(SALU_CYCLE_2) | instskip(SKIP_2) | instid1(SALU_CYCLE_1)
	s_fmamk_f32 s0, s3, 0xcf800000, s0
	s_cvt_u32_f32 s59, s3
	s_wait_alu 0xfffe
	s_cvt_u32_f32 s58, s0
	s_wait_alu 0xfffe
	s_delay_alu instid0(SALU_CYCLE_2)
	s_mul_u64 s[62:63], s[60:61], s[58:59]
	s_wait_alu 0xfffe
	s_mul_hi_u32 s65, s58, s63
	s_mul_i32 s64, s58, s63
	s_mul_hi_u32 s34, s58, s62
	s_mul_i32 s3, s59, s62
	s_wait_alu 0xfffe
	s_add_nc_u64 s[64:65], s[34:35], s[64:65]
	s_mul_hi_u32 s0, s59, s62
	s_mul_hi_u32 s66, s59, s63
	s_add_co_u32 s3, s64, s3
	s_wait_alu 0xfffe
	s_add_co_ci_u32 s34, s65, s0
	s_mul_i32 s62, s59, s63
	s_add_co_ci_u32 s63, s66, 0
	s_wait_alu 0xfffe
	s_add_nc_u64 s[62:63], s[34:35], s[62:63]
	s_wait_alu 0xfffe
	s_add_co_u32 s58, s58, s62
	s_cselect_b32 s0, -1, 0
	s_wait_alu 0xfffe
	s_cmp_lg_u32 s0, 0
	s_add_co_ci_u32 s59, s59, s63
	s_wait_alu 0xfffe
	s_mul_u64 s[60:61], s[60:61], s[58:59]
	s_wait_alu 0xfffe
	s_mul_hi_u32 s63, s58, s61
	s_mul_i32 s62, s58, s61
	s_mul_hi_u32 s34, s58, s60
	s_mul_i32 s3, s59, s60
	s_wait_alu 0xfffe
	s_add_nc_u64 s[62:63], s[34:35], s[62:63]
	s_mul_hi_u32 s0, s59, s60
	s_mul_hi_u32 s64, s59, s61
	s_wait_alu 0xfffe
	s_add_co_u32 s3, s62, s3
	s_add_co_ci_u32 s34, s63, s0
	s_mul_i32 s60, s59, s61
	s_add_co_ci_u32 s61, s64, 0
	s_wait_alu 0xfffe
	s_add_nc_u64 s[60:61], s[34:35], s[60:61]
	s_wait_alu 0xfffe
	s_add_co_u32 s0, s58, s60
	s_cselect_b32 s3, -1, 0
	s_wait_alu 0xfffe
	v_mul_hi_u32 v16, v7, s0
	s_cmp_lg_u32 s3, 0
	v_mad_co_u64_u32 v[5:6], null, v15, s0, 0
	s_add_co_ci_u32 s3, s59, s61
	s_wait_alu 0xfffe
	v_mad_co_u64_u32 v[3:4], null, v7, s3, 0
	v_mad_co_u64_u32 v[12:13], null, v15, s3, 0
	s_delay_alu instid0(VALU_DEP_2) | instskip(SKIP_1) | instid1(VALU_DEP_3)
	v_add_co_u32 v3, vcc_lo, v16, v3
	s_wait_alu 0xfffd
	v_add_co_ci_u32_e64 v4, null, 0, v4, vcc_lo
	s_delay_alu instid0(VALU_DEP_2) | instskip(SKIP_1) | instid1(VALU_DEP_2)
	v_add_co_u32 v3, vcc_lo, v3, v5
	s_wait_alu 0xfffd
	v_add_co_ci_u32_e32 v3, vcc_lo, v4, v6, vcc_lo
	s_wait_alu 0xfffd
	v_add_co_ci_u32_e32 v4, vcc_lo, 0, v13, vcc_lo
	s_delay_alu instid0(VALU_DEP_2) | instskip(SKIP_1) | instid1(VALU_DEP_2)
	v_add_co_u32 v5, vcc_lo, v3, v12
	s_wait_alu 0xfffd
	v_add_co_ci_u32_e64 v6, null, 0, v4, vcc_lo
	s_delay_alu instid0(VALU_DEP_2) | instskip(SKIP_1) | instid1(VALU_DEP_3)
	v_mul_lo_u32 v12, s57, v5
	v_mad_co_u64_u32 v[3:4], null, s56, v5, 0
	v_mul_lo_u32 v13, s56, v6
	s_delay_alu instid0(VALU_DEP_2) | instskip(NEXT) | instid1(VALU_DEP_2)
	v_sub_co_u32 v3, vcc_lo, v7, v3
	v_add3_u32 v4, v4, v13, v12
	s_delay_alu instid0(VALU_DEP_1) | instskip(SKIP_2) | instid1(VALU_DEP_2)
	v_sub_nc_u32_e32 v12, v15, v4
	s_wait_alu 0xfffd
	v_sub_co_ci_u32_e64 v4, null, v15, v4, vcc_lo
	v_subrev_co_ci_u32_e64 v7, null, s57, v12, vcc_lo
	v_add_co_u32 v12, s0, v5, 2
	s_wait_alu 0xf1ff
	v_add_co_ci_u32_e64 v13, null, 0, v6, s0
	v_sub_co_u32 v16, s0, v3, s56
	s_wait_alu 0xf1ff
	v_subrev_co_ci_u32_e64 v7, null, 0, v7, s0
	s_delay_alu instid0(VALU_DEP_2) | instskip(SKIP_2) | instid1(VALU_DEP_3)
	v_cmp_le_u32_e32 vcc_lo, s56, v16
	s_wait_alu 0xfffd
	v_cndmask_b32_e64 v15, 0, -1, vcc_lo
	v_cmp_le_u32_e32 vcc_lo, s57, v7
	s_wait_alu 0xfffd
	v_cndmask_b32_e64 v16, 0, -1, vcc_lo
	;; [unrolled: 3-line block ×4, first 2 shown]
	v_cmp_eq_u32_e32 vcc_lo, s57, v7
	s_wait_alu 0xfffd
	v_cndmask_b32_e32 v7, v16, v15, vcc_lo
	v_add_co_u32 v15, vcc_lo, v5, 1
	s_wait_alu 0xfffd
	v_add_co_ci_u32_e64 v16, null, 0, v6, vcc_lo
	v_cmp_eq_u32_e32 vcc_lo, s57, v4
	s_wait_alu 0xfffd
	v_cndmask_b32_e32 v3, v17, v3, vcc_lo
	v_cmp_ne_u32_e32 vcc_lo, 0, v7
	v_xor_b32_e32 v7, s2, v14
	s_wait_alu 0xfffd
	v_cndmask_b32_e32 v4, v16, v13, vcc_lo
	v_cmp_ne_u32_e64 s0, 0, v3
	v_cndmask_b32_e32 v3, v15, v12, vcc_lo
	s_wait_alu 0xf1ff
	s_delay_alu instid0(VALU_DEP_2) | instskip(NEXT) | instid1(VALU_DEP_2)
	v_cndmask_b32_e64 v4, v6, v4, s0
	v_cndmask_b32_e64 v3, v5, v3, s0
                                        ; implicit-def: $vgpr6
	s_delay_alu instid0(VALU_DEP_2) | instskip(NEXT) | instid1(VALU_DEP_2)
	v_xor_b32_e32 v5, v4, v7
	v_xor_b32_e32 v3, v3, v7
	s_delay_alu instid0(VALU_DEP_1) | instskip(SKIP_1) | instid1(VALU_DEP_3)
	v_sub_co_u32 v4, vcc_lo, v3, v7
	s_wait_alu 0xfffd
	v_sub_co_ci_u32_e64 v5, null, v5, v7, vcc_lo
.LBB24_10:                              ;   in Loop: Header=BB24_3 Depth=1
	s_wait_alu 0xfffe
	s_and_not1_saveexec_b32 s0, s55
	s_cbranch_execz .LBB24_12
; %bb.11:                               ;   in Loop: Header=BB24_3 Depth=1
	s_sub_co_i32 s2, 0, s40
	s_wait_alu 0xfffe
	v_mul_lo_u32 v3, s2, v33
	s_delay_alu instid0(VALU_DEP_1) | instskip(NEXT) | instid1(VALU_DEP_1)
	v_mul_hi_u32 v3, v33, v3
	v_add_nc_u32_e32 v3, v33, v3
	s_delay_alu instid0(VALU_DEP_1) | instskip(NEXT) | instid1(VALU_DEP_1)
	v_mul_hi_u32 v3, v6, v3
	v_mul_lo_u32 v4, v3, s40
	v_add_nc_u32_e32 v5, 1, v3
	s_delay_alu instid0(VALU_DEP_2) | instskip(NEXT) | instid1(VALU_DEP_1)
	v_sub_nc_u32_e32 v4, v6, v4
	v_subrev_nc_u32_e32 v6, s40, v4
	v_cmp_le_u32_e32 vcc_lo, s40, v4
	s_wait_alu 0xfffd
	s_delay_alu instid0(VALU_DEP_2) | instskip(NEXT) | instid1(VALU_DEP_1)
	v_dual_cndmask_b32 v4, v4, v6 :: v_dual_cndmask_b32 v3, v3, v5
	v_cmp_le_u32_e32 vcc_lo, s40, v4
	s_delay_alu instid0(VALU_DEP_2) | instskip(SKIP_1) | instid1(VALU_DEP_1)
	v_add_nc_u32_e32 v5, 1, v3
	s_wait_alu 0xfffd
	v_dual_cndmask_b32 v4, v3, v5 :: v_dual_mov_b32 v5, v2
.LBB24_12:                              ;   in Loop: Header=BB24_3 Depth=1
	s_wait_alu 0xfffe
	s_or_b32 exec_lo, exec_lo, s0
	s_delay_alu instid0(VALU_DEP_1)
	v_add_co_u32 v4, vcc_lo, v4, 1
	s_wait_alu 0xfffd
	v_add_co_ci_u32_e64 v5, null, 0, v5, vcc_lo
.LBB24_13:                              ;   in Loop: Header=BB24_3 Depth=1
	s_wait_alu 0xfffe
	s_or_b32 exec_lo, exec_lo, s1
	v_or_b32_e32 v3, s41, v11
                                        ; implicit-def: $vgpr6_vgpr7
	s_mov_b32 s0, exec_lo
	s_delay_alu instid0(VALU_DEP_1)
	v_cmpx_ne_u64_e32 0, v[2:3]
	s_wait_alu 0xfffe
	s_xor_b32 s1, exec_lo, s0
	s_cbranch_execz .LBB24_15
; %bb.14:                               ;   in Loop: Header=BB24_3 Depth=1
	s_ashr_i32 s2, s41, 31
	v_ashrrev_i32_e32 v3, 31, v11
	s_wait_alu 0xfffe
	s_mov_b32 s3, s2
	s_wait_alu 0xfffe
	s_add_nc_u64 s[56:57], s[40:41], s[2:3]
	v_add_co_u32 v6, vcc_lo, v10, v3
	s_wait_alu 0xfffe
	s_xor_b64 s[56:57], s[56:57], s[2:3]
	s_wait_alu 0xfffd
	v_add_co_ci_u32_e64 v7, null, v11, v3, vcc_lo
	s_wait_alu 0xfffe
	s_cvt_f32_u32 s0, s56
	s_cvt_f32_u32 s3, s57
	s_sub_nc_u64 s[60:61], 0, s[56:57]
	v_xor_b32_e32 v14, v6, v3
	v_xor_b32_e32 v15, v7, v3
	s_wait_alu 0xfffe
	s_fmamk_f32 s0, s3, 0x4f800000, s0
	v_xor_b32_e32 v3, s2, v3
	s_wait_alu 0xfffe
	s_delay_alu instid0(SALU_CYCLE_1) | instskip(NEXT) | instid1(TRANS32_DEP_1)
	v_s_rcp_f32 s0, s0
	s_mul_f32 s0, s0, 0x5f7ffffc
	s_wait_alu 0xfffe
	s_delay_alu instid0(SALU_CYCLE_2) | instskip(SKIP_1) | instid1(SALU_CYCLE_2)
	s_mul_f32 s3, s0, 0x2f800000
	s_wait_alu 0xfffe
	s_trunc_f32 s3, s3
	s_wait_alu 0xfffe
	s_delay_alu instid0(SALU_CYCLE_2) | instskip(SKIP_2) | instid1(SALU_CYCLE_1)
	s_fmamk_f32 s0, s3, 0xcf800000, s0
	s_cvt_u32_f32 s59, s3
	s_wait_alu 0xfffe
	s_cvt_u32_f32 s58, s0
	s_wait_alu 0xfffe
	s_delay_alu instid0(SALU_CYCLE_2)
	s_mul_u64 s[62:63], s[60:61], s[58:59]
	s_wait_alu 0xfffe
	s_mul_hi_u32 s65, s58, s63
	s_mul_i32 s64, s58, s63
	s_mul_hi_u32 s34, s58, s62
	s_mul_i32 s3, s59, s62
	s_wait_alu 0xfffe
	s_add_nc_u64 s[64:65], s[34:35], s[64:65]
	s_mul_hi_u32 s0, s59, s62
	s_mul_hi_u32 s55, s59, s63
	s_add_co_u32 s3, s64, s3
	s_wait_alu 0xfffe
	s_add_co_ci_u32 s34, s65, s0
	s_mul_i32 s62, s59, s63
	s_add_co_ci_u32 s63, s55, 0
	s_wait_alu 0xfffe
	s_add_nc_u64 s[62:63], s[34:35], s[62:63]
	s_wait_alu 0xfffe
	s_add_co_u32 s58, s58, s62
	s_cselect_b32 s0, -1, 0
	s_wait_alu 0xfffe
	s_cmp_lg_u32 s0, 0
	s_add_co_ci_u32 s59, s59, s63
	s_wait_alu 0xfffe
	s_mul_u64 s[60:61], s[60:61], s[58:59]
	s_wait_alu 0xfffe
	s_mul_hi_u32 s63, s58, s61
	s_mul_i32 s62, s58, s61
	s_mul_hi_u32 s34, s58, s60
	s_mul_i32 s3, s59, s60
	s_wait_alu 0xfffe
	s_add_nc_u64 s[62:63], s[34:35], s[62:63]
	s_mul_hi_u32 s0, s59, s60
	s_mul_hi_u32 s55, s59, s61
	s_wait_alu 0xfffe
	s_add_co_u32 s3, s62, s3
	s_add_co_ci_u32 s34, s63, s0
	s_mul_i32 s60, s59, s61
	s_add_co_ci_u32 s61, s55, 0
	s_wait_alu 0xfffe
	s_add_nc_u64 s[60:61], s[34:35], s[60:61]
	s_wait_alu 0xfffe
	s_add_co_u32 s0, s58, s60
	s_cselect_b32 s3, -1, 0
	s_wait_alu 0xfffe
	v_mul_hi_u32 v16, v14, s0
	s_cmp_lg_u32 s3, 0
	v_mad_co_u64_u32 v[10:11], null, v15, s0, 0
	s_add_co_ci_u32 s3, s59, s61
	s_wait_alu 0xfffe
	v_mad_co_u64_u32 v[6:7], null, v14, s3, 0
	v_mad_co_u64_u32 v[12:13], null, v15, s3, 0
	s_delay_alu instid0(VALU_DEP_2) | instskip(SKIP_1) | instid1(VALU_DEP_3)
	v_add_co_u32 v6, vcc_lo, v16, v6
	s_wait_alu 0xfffd
	v_add_co_ci_u32_e64 v7, null, 0, v7, vcc_lo
	s_delay_alu instid0(VALU_DEP_2) | instskip(SKIP_1) | instid1(VALU_DEP_2)
	v_add_co_u32 v6, vcc_lo, v6, v10
	s_wait_alu 0xfffd
	v_add_co_ci_u32_e32 v6, vcc_lo, v7, v11, vcc_lo
	s_wait_alu 0xfffd
	v_add_co_ci_u32_e32 v7, vcc_lo, 0, v13, vcc_lo
	s_delay_alu instid0(VALU_DEP_2) | instskip(SKIP_1) | instid1(VALU_DEP_2)
	v_add_co_u32 v10, vcc_lo, v6, v12
	s_wait_alu 0xfffd
	v_add_co_ci_u32_e64 v11, null, 0, v7, vcc_lo
	s_delay_alu instid0(VALU_DEP_2) | instskip(SKIP_1) | instid1(VALU_DEP_3)
	v_mul_lo_u32 v12, s57, v10
	v_mad_co_u64_u32 v[6:7], null, s56, v10, 0
	v_mul_lo_u32 v13, s56, v11
	s_delay_alu instid0(VALU_DEP_2) | instskip(NEXT) | instid1(VALU_DEP_2)
	v_sub_co_u32 v6, vcc_lo, v14, v6
	v_add3_u32 v7, v7, v13, v12
	v_add_co_u32 v13, s0, v10, 2
	s_wait_alu 0xf1ff
	v_add_co_ci_u32_e64 v14, null, 0, v11, s0
	s_delay_alu instid0(VALU_DEP_3) | instskip(SKIP_3) | instid1(VALU_DEP_3)
	v_sub_nc_u32_e32 v12, v15, v7
	v_sub_co_u32 v16, s0, v6, s56
	s_wait_alu 0xfffd
	v_sub_co_ci_u32_e64 v7, null, v15, v7, vcc_lo
	v_subrev_co_ci_u32_e64 v12, null, s57, v12, vcc_lo
	s_delay_alu instid0(VALU_DEP_3) | instskip(SKIP_1) | instid1(VALU_DEP_2)
	v_cmp_le_u32_e32 vcc_lo, s56, v16
	s_wait_alu 0xf1ff
	v_subrev_co_ci_u32_e64 v12, null, 0, v12, s0
	s_wait_alu 0xfffd
	v_cndmask_b32_e64 v15, 0, -1, vcc_lo
	s_delay_alu instid0(VALU_DEP_2)
	v_cmp_le_u32_e32 vcc_lo, s57, v12
	s_wait_alu 0xfffd
	v_cndmask_b32_e64 v16, 0, -1, vcc_lo
	v_cmp_le_u32_e32 vcc_lo, s56, v6
	s_wait_alu 0xfffd
	v_cndmask_b32_e64 v6, 0, -1, vcc_lo
	;; [unrolled: 3-line block ×3, first 2 shown]
	v_cmp_eq_u32_e32 vcc_lo, s57, v12
	s_wait_alu 0xfffd
	v_cndmask_b32_e32 v12, v16, v15, vcc_lo
	v_add_co_u32 v15, vcc_lo, v10, 1
	s_wait_alu 0xfffd
	v_add_co_ci_u32_e64 v16, null, 0, v11, vcc_lo
	v_cmp_eq_u32_e32 vcc_lo, s57, v7
	s_wait_alu 0xfffd
	v_cndmask_b32_e32 v6, v17, v6, vcc_lo
	v_cmp_ne_u32_e32 vcc_lo, 0, v12
	s_delay_alu instid0(VALU_DEP_2) | instskip(SKIP_3) | instid1(VALU_DEP_1)
	v_cmp_ne_u32_e64 s0, 0, v6
	s_wait_alu 0xfffd
	v_dual_cndmask_b32 v7, v16, v14 :: v_dual_cndmask_b32 v6, v15, v13
	s_wait_alu 0xf1ff
	v_cndmask_b32_e64 v7, v11, v7, s0
	s_delay_alu instid0(VALU_DEP_2) | instskip(NEXT) | instid1(VALU_DEP_2)
	v_cndmask_b32_e64 v6, v10, v6, s0
                                        ; implicit-def: $vgpr10
	v_xor_b32_e32 v7, v7, v3
	s_delay_alu instid0(VALU_DEP_2) | instskip(NEXT) | instid1(VALU_DEP_1)
	v_xor_b32_e32 v6, v6, v3
	v_sub_co_u32 v6, vcc_lo, v6, v3
	s_wait_alu 0xfffd
	s_delay_alu instid0(VALU_DEP_3)
	v_sub_co_ci_u32_e64 v7, null, v7, v3, vcc_lo
.LBB24_15:                              ;   in Loop: Header=BB24_3 Depth=1
	s_wait_alu 0xfffe
	s_and_not1_saveexec_b32 s0, s1
	s_cbranch_execz .LBB24_17
; %bb.16:                               ;   in Loop: Header=BB24_3 Depth=1
	s_sub_co_i32 s1, 0, s40
	s_wait_alu 0xfffe
	v_mul_lo_u32 v3, s1, v33
	s_delay_alu instid0(VALU_DEP_1) | instskip(NEXT) | instid1(VALU_DEP_1)
	v_mul_hi_u32 v3, v33, v3
	v_add_nc_u32_e32 v3, v33, v3
	s_delay_alu instid0(VALU_DEP_1) | instskip(NEXT) | instid1(VALU_DEP_1)
	v_mul_hi_u32 v3, v10, v3
	v_mul_lo_u32 v6, v3, s40
	v_add_nc_u32_e32 v7, 1, v3
	s_delay_alu instid0(VALU_DEP_2) | instskip(NEXT) | instid1(VALU_DEP_1)
	v_sub_nc_u32_e32 v6, v10, v6
	v_subrev_nc_u32_e32 v10, s40, v6
	v_cmp_le_u32_e32 vcc_lo, s40, v6
	s_wait_alu 0xfffd
	s_delay_alu instid0(VALU_DEP_2) | instskip(NEXT) | instid1(VALU_DEP_1)
	v_dual_cndmask_b32 v6, v6, v10 :: v_dual_cndmask_b32 v3, v3, v7
	v_cmp_le_u32_e32 vcc_lo, s40, v6
	s_delay_alu instid0(VALU_DEP_2) | instskip(SKIP_1) | instid1(VALU_DEP_1)
	v_add_nc_u32_e32 v7, 1, v3
	s_wait_alu 0xfffd
	v_dual_cndmask_b32 v6, v3, v7 :: v_dual_mov_b32 v7, v2
.LBB24_17:                              ;   in Loop: Header=BB24_3 Depth=1
	s_wait_alu 0xfffe
	s_or_b32 exec_lo, exec_lo, s0
	v_mul_lo_u32 v3, v9, s14
	v_mul_lo_u32 v10, v8, s15
	v_mad_co_u64_u32 v[8:9], null, v8, s14, 0
	s_mov_b32 s1, exec_lo
	v_add3_u32 v3, v9, v10, v3
	v_sub_co_u32 v8, vcc_lo, v0, v8
	s_wait_alu 0xfffd
	s_delay_alu instid0(VALU_DEP_2) | instskip(NEXT) | instid1(VALU_DEP_2)
	v_sub_co_ci_u32_e64 v3, null, v1, v3, vcc_lo
	v_add_co_u32 v10, vcc_lo, v8, s74
	v_mov_b32_e32 v8, 0
	s_wait_alu 0xfffd
	s_delay_alu instid0(VALU_DEP_3) | instskip(SKIP_1) | instid1(VALU_DEP_2)
	v_add_co_ci_u32_e64 v11, null, s73, v3, vcc_lo
	v_mov_b32_e32 v9, 0
	v_cmpx_le_i64_e64 s[24:25], v[10:11]
	s_cbranch_execz .LBB24_23
; %bb.18:                               ;   in Loop: Header=BB24_3 Depth=1
	v_sub_co_u32 v12, vcc_lo, v10, s24
	s_wait_alu 0xfffd
	v_subrev_co_ci_u32_e64 v13, null, s25, v11, vcc_lo
                                        ; implicit-def: $vgpr8_vgpr9
	s_mov_b32 s0, exec_lo
	v_or_b32_e32 v3, s21, v13
	s_delay_alu instid0(VALU_DEP_1)
	v_cmpx_ne_u64_e32 0, v[2:3]
	s_wait_alu 0xfffe
	s_xor_b32 s55, exec_lo, s0
	s_cbranch_execz .LBB24_20
; %bb.19:                               ;   in Loop: Header=BB24_3 Depth=1
	s_ashr_i32 s2, s21, 31
	v_ashrrev_i32_e32 v3, 31, v13
	s_wait_alu 0xfffe
	s_mov_b32 s3, s2
	s_wait_alu 0xfffe
	s_add_nc_u64 s[56:57], s[20:21], s[2:3]
	v_add_co_u32 v8, vcc_lo, v12, v3
	s_wait_alu 0xfffe
	s_xor_b64 s[56:57], s[56:57], s[2:3]
	s_wait_alu 0xfffd
	v_add_co_ci_u32_e64 v9, null, v13, v3, vcc_lo
	s_wait_alu 0xfffe
	s_cvt_f32_u32 s0, s56
	s_cvt_f32_u32 s3, s57
	s_sub_nc_u64 s[60:61], 0, s[56:57]
	v_xor_b32_e32 v16, v8, v3
	v_xor_b32_e32 v17, v9, v3
	s_wait_alu 0xfffe
	s_fmamk_f32 s0, s3, 0x4f800000, s0
	v_xor_b32_e32 v3, s2, v3
	s_wait_alu 0xfffe
	s_delay_alu instid0(SALU_CYCLE_1) | instskip(NEXT) | instid1(TRANS32_DEP_1)
	v_s_rcp_f32 s0, s0
	s_mul_f32 s0, s0, 0x5f7ffffc
	s_wait_alu 0xfffe
	s_delay_alu instid0(SALU_CYCLE_2) | instskip(SKIP_1) | instid1(SALU_CYCLE_2)
	s_mul_f32 s3, s0, 0x2f800000
	s_wait_alu 0xfffe
	s_trunc_f32 s3, s3
	s_wait_alu 0xfffe
	s_delay_alu instid0(SALU_CYCLE_2) | instskip(SKIP_2) | instid1(SALU_CYCLE_1)
	s_fmamk_f32 s0, s3, 0xcf800000, s0
	s_cvt_u32_f32 s59, s3
	s_wait_alu 0xfffe
	s_cvt_u32_f32 s58, s0
	s_wait_alu 0xfffe
	s_delay_alu instid0(SALU_CYCLE_2)
	s_mul_u64 s[62:63], s[60:61], s[58:59]
	s_wait_alu 0xfffe
	s_mul_hi_u32 s65, s58, s63
	s_mul_i32 s64, s58, s63
	s_mul_hi_u32 s34, s58, s62
	s_mul_i32 s3, s59, s62
	s_wait_alu 0xfffe
	s_add_nc_u64 s[64:65], s[34:35], s[64:65]
	s_mul_hi_u32 s0, s59, s62
	s_mul_hi_u32 s66, s59, s63
	s_add_co_u32 s3, s64, s3
	s_wait_alu 0xfffe
	s_add_co_ci_u32 s34, s65, s0
	s_mul_i32 s62, s59, s63
	s_add_co_ci_u32 s63, s66, 0
	s_wait_alu 0xfffe
	s_add_nc_u64 s[62:63], s[34:35], s[62:63]
	s_wait_alu 0xfffe
	s_add_co_u32 s58, s58, s62
	s_cselect_b32 s0, -1, 0
	s_wait_alu 0xfffe
	s_cmp_lg_u32 s0, 0
	s_add_co_ci_u32 s59, s59, s63
	s_wait_alu 0xfffe
	s_mul_u64 s[60:61], s[60:61], s[58:59]
	s_wait_alu 0xfffe
	s_mul_hi_u32 s63, s58, s61
	s_mul_i32 s62, s58, s61
	s_mul_hi_u32 s34, s58, s60
	s_mul_i32 s3, s59, s60
	s_wait_alu 0xfffe
	s_add_nc_u64 s[62:63], s[34:35], s[62:63]
	s_mul_hi_u32 s0, s59, s60
	s_mul_hi_u32 s64, s59, s61
	s_wait_alu 0xfffe
	s_add_co_u32 s3, s62, s3
	s_add_co_ci_u32 s34, s63, s0
	s_mul_i32 s60, s59, s61
	s_add_co_ci_u32 s61, s64, 0
	s_wait_alu 0xfffe
	s_add_nc_u64 s[60:61], s[34:35], s[60:61]
	s_wait_alu 0xfffe
	s_add_co_u32 s0, s58, s60
	s_cselect_b32 s3, -1, 0
	s_wait_alu 0xfffe
	v_mul_hi_u32 v18, v16, s0
	s_cmp_lg_u32 s3, 0
	v_mad_co_u64_u32 v[12:13], null, v17, s0, 0
	s_add_co_ci_u32 s3, s59, s61
	s_wait_alu 0xfffe
	v_mad_co_u64_u32 v[8:9], null, v16, s3, 0
	v_mad_co_u64_u32 v[14:15], null, v17, s3, 0
	s_delay_alu instid0(VALU_DEP_2) | instskip(SKIP_1) | instid1(VALU_DEP_3)
	v_add_co_u32 v8, vcc_lo, v18, v8
	s_wait_alu 0xfffd
	v_add_co_ci_u32_e64 v9, null, 0, v9, vcc_lo
	s_delay_alu instid0(VALU_DEP_2) | instskip(SKIP_1) | instid1(VALU_DEP_2)
	v_add_co_u32 v8, vcc_lo, v8, v12
	s_wait_alu 0xfffd
	v_add_co_ci_u32_e32 v8, vcc_lo, v9, v13, vcc_lo
	s_wait_alu 0xfffd
	v_add_co_ci_u32_e32 v9, vcc_lo, 0, v15, vcc_lo
	s_delay_alu instid0(VALU_DEP_2) | instskip(SKIP_1) | instid1(VALU_DEP_2)
	v_add_co_u32 v12, vcc_lo, v8, v14
	s_wait_alu 0xfffd
	v_add_co_ci_u32_e64 v13, null, 0, v9, vcc_lo
	s_delay_alu instid0(VALU_DEP_2) | instskip(SKIP_1) | instid1(VALU_DEP_3)
	v_mul_lo_u32 v14, s57, v12
	v_mad_co_u64_u32 v[8:9], null, s56, v12, 0
	v_mul_lo_u32 v15, s56, v13
	s_delay_alu instid0(VALU_DEP_2) | instskip(NEXT) | instid1(VALU_DEP_2)
	v_sub_co_u32 v8, vcc_lo, v16, v8
	v_add3_u32 v9, v9, v15, v14
	v_add_co_u32 v15, s0, v12, 2
	s_wait_alu 0xf1ff
	v_add_co_ci_u32_e64 v16, null, 0, v13, s0
	s_delay_alu instid0(VALU_DEP_3) | instskip(SKIP_3) | instid1(VALU_DEP_3)
	v_sub_nc_u32_e32 v14, v17, v9
	v_sub_co_u32 v18, s0, v8, s56
	s_wait_alu 0xfffd
	v_sub_co_ci_u32_e64 v9, null, v17, v9, vcc_lo
	v_subrev_co_ci_u32_e64 v14, null, s57, v14, vcc_lo
	s_delay_alu instid0(VALU_DEP_3) | instskip(SKIP_1) | instid1(VALU_DEP_2)
	v_cmp_le_u32_e32 vcc_lo, s56, v18
	s_wait_alu 0xf1ff
	v_subrev_co_ci_u32_e64 v14, null, 0, v14, s0
	s_wait_alu 0xfffd
	v_cndmask_b32_e64 v17, 0, -1, vcc_lo
	s_delay_alu instid0(VALU_DEP_2)
	v_cmp_le_u32_e32 vcc_lo, s57, v14
	s_wait_alu 0xfffd
	v_cndmask_b32_e64 v18, 0, -1, vcc_lo
	v_cmp_le_u32_e32 vcc_lo, s56, v8
	s_wait_alu 0xfffd
	v_cndmask_b32_e64 v8, 0, -1, vcc_lo
	;; [unrolled: 3-line block ×3, first 2 shown]
	v_cmp_eq_u32_e32 vcc_lo, s57, v14
	s_wait_alu 0xfffd
	v_cndmask_b32_e32 v14, v18, v17, vcc_lo
	v_add_co_u32 v17, vcc_lo, v12, 1
	s_wait_alu 0xfffd
	v_add_co_ci_u32_e64 v18, null, 0, v13, vcc_lo
	v_cmp_eq_u32_e32 vcc_lo, s57, v9
	s_wait_alu 0xfffd
	v_cndmask_b32_e32 v8, v19, v8, vcc_lo
	v_cmp_ne_u32_e32 vcc_lo, 0, v14
	s_delay_alu instid0(VALU_DEP_2) | instskip(SKIP_3) | instid1(VALU_DEP_1)
	v_cmp_ne_u32_e64 s0, 0, v8
	s_wait_alu 0xfffd
	v_dual_cndmask_b32 v9, v18, v16 :: v_dual_cndmask_b32 v8, v17, v15
	s_wait_alu 0xf1ff
	v_cndmask_b32_e64 v9, v13, v9, s0
	s_delay_alu instid0(VALU_DEP_2) | instskip(NEXT) | instid1(VALU_DEP_2)
	v_cndmask_b32_e64 v8, v12, v8, s0
                                        ; implicit-def: $vgpr12
	v_xor_b32_e32 v9, v9, v3
	s_delay_alu instid0(VALU_DEP_2) | instskip(NEXT) | instid1(VALU_DEP_1)
	v_xor_b32_e32 v8, v8, v3
	v_sub_co_u32 v8, vcc_lo, v8, v3
	s_wait_alu 0xfffd
	s_delay_alu instid0(VALU_DEP_3)
	v_sub_co_ci_u32_e64 v9, null, v9, v3, vcc_lo
.LBB24_20:                              ;   in Loop: Header=BB24_3 Depth=1
	s_wait_alu 0xfffe
	s_and_not1_saveexec_b32 s0, s55
	s_cbranch_execz .LBB24_22
; %bb.21:                               ;   in Loop: Header=BB24_3 Depth=1
	v_cvt_f32_u32_e32 v3, s20
	s_sub_co_i32 s2, 0, s20
	s_delay_alu instid0(VALU_DEP_1) | instskip(NEXT) | instid1(TRANS32_DEP_1)
	v_rcp_iflag_f32_e32 v3, v3
	v_mul_f32_e32 v3, 0x4f7ffffe, v3
	s_delay_alu instid0(VALU_DEP_1) | instskip(SKIP_1) | instid1(VALU_DEP_1)
	v_cvt_u32_f32_e32 v3, v3
	s_wait_alu 0xfffe
	v_mul_lo_u32 v8, s2, v3
	s_delay_alu instid0(VALU_DEP_1) | instskip(NEXT) | instid1(VALU_DEP_1)
	v_mul_hi_u32 v8, v3, v8
	v_add_nc_u32_e32 v3, v3, v8
	s_delay_alu instid0(VALU_DEP_1) | instskip(NEXT) | instid1(VALU_DEP_1)
	v_mul_hi_u32 v3, v12, v3
	v_mul_lo_u32 v8, v3, s20
	v_add_nc_u32_e32 v9, 1, v3
	s_delay_alu instid0(VALU_DEP_2) | instskip(NEXT) | instid1(VALU_DEP_1)
	v_sub_nc_u32_e32 v8, v12, v8
	v_subrev_nc_u32_e32 v12, s20, v8
	v_cmp_le_u32_e32 vcc_lo, s20, v8
	s_wait_alu 0xfffd
	s_delay_alu instid0(VALU_DEP_2) | instskip(NEXT) | instid1(VALU_DEP_1)
	v_dual_cndmask_b32 v8, v8, v12 :: v_dual_cndmask_b32 v3, v3, v9
	v_cmp_le_u32_e32 vcc_lo, s20, v8
	s_delay_alu instid0(VALU_DEP_2) | instskip(SKIP_1) | instid1(VALU_DEP_1)
	v_add_nc_u32_e32 v9, 1, v3
	s_wait_alu 0xfffd
	v_dual_cndmask_b32 v8, v3, v9 :: v_dual_mov_b32 v9, v2
.LBB24_22:                              ;   in Loop: Header=BB24_3 Depth=1
	s_wait_alu 0xfffe
	s_or_b32 exec_lo, exec_lo, s0
	s_delay_alu instid0(VALU_DEP_1)
	v_add_co_u32 v8, vcc_lo, v8, 1
	s_wait_alu 0xfffd
	v_add_co_ci_u32_e64 v9, null, 0, v9, vcc_lo
.LBB24_23:                              ;   in Loop: Header=BB24_3 Depth=1
	s_wait_alu 0xfffe
	s_or_b32 exec_lo, exec_lo, s1
	v_or_b32_e32 v3, s21, v11
                                        ; implicit-def: $vgpr12_vgpr13
	s_mov_b32 s0, exec_lo
	s_delay_alu instid0(VALU_DEP_1)
	v_cmpx_ne_u64_e32 0, v[2:3]
	s_wait_alu 0xfffe
	s_xor_b32 s1, exec_lo, s0
	s_cbranch_execnz .LBB24_26
; %bb.24:                               ;   in Loop: Header=BB24_3 Depth=1
	s_wait_alu 0xfffe
	s_and_not1_saveexec_b32 s0, s1
	s_cbranch_execnz .LBB24_27
.LBB24_25:                              ;   in Loop: Header=BB24_3 Depth=1
	s_wait_alu 0xfffe
	s_or_b32 exec_lo, exec_lo, s0
	s_delay_alu instid0(SALU_CYCLE_1)
	s_and_not1_b32 vcc_lo, exec_lo, s75
	s_wait_alu 0xfffe
	s_cbranch_vccnz .LBB24_2
	s_branch .LBB24_28
.LBB24_26:                              ;   in Loop: Header=BB24_3 Depth=1
	s_ashr_i32 s2, s21, 31
	v_ashrrev_i32_e32 v3, 31, v11
	s_wait_alu 0xfffe
	s_mov_b32 s3, s2
	s_wait_alu 0xfffe
	s_add_nc_u64 s[56:57], s[20:21], s[2:3]
	v_add_co_u32 v10, vcc_lo, v10, v3
	s_wait_alu 0xfffe
	s_xor_b64 s[56:57], s[56:57], s[2:3]
	s_wait_alu 0xfffd
	v_add_co_ci_u32_e64 v11, null, v11, v3, vcc_lo
	s_wait_alu 0xfffe
	s_cvt_f32_u32 s0, s56
	s_cvt_f32_u32 s3, s57
	s_sub_nc_u64 s[60:61], 0, s[56:57]
	v_xor_b32_e32 v16, v10, v3
	v_xor_b32_e32 v17, v11, v3
	s_wait_alu 0xfffe
	s_fmamk_f32 s0, s3, 0x4f800000, s0
	v_xor_b32_e32 v3, s2, v3
	s_wait_alu 0xfffe
	s_delay_alu instid0(SALU_CYCLE_1) | instskip(NEXT) | instid1(TRANS32_DEP_1)
	v_s_rcp_f32 s0, s0
	s_mul_f32 s0, s0, 0x5f7ffffc
	s_wait_alu 0xfffe
	s_delay_alu instid0(SALU_CYCLE_2) | instskip(SKIP_1) | instid1(SALU_CYCLE_2)
	s_mul_f32 s3, s0, 0x2f800000
	s_wait_alu 0xfffe
	s_trunc_f32 s3, s3
	s_wait_alu 0xfffe
	s_delay_alu instid0(SALU_CYCLE_2) | instskip(SKIP_2) | instid1(SALU_CYCLE_1)
	s_fmamk_f32 s0, s3, 0xcf800000, s0
	s_cvt_u32_f32 s59, s3
	s_wait_alu 0xfffe
	s_cvt_u32_f32 s58, s0
	s_wait_alu 0xfffe
	s_delay_alu instid0(SALU_CYCLE_2)
	s_mul_u64 s[62:63], s[60:61], s[58:59]
	s_wait_alu 0xfffe
	s_mul_hi_u32 s65, s58, s63
	s_mul_i32 s64, s58, s63
	s_mul_hi_u32 s34, s58, s62
	s_mul_i32 s3, s59, s62
	s_wait_alu 0xfffe
	s_add_nc_u64 s[64:65], s[34:35], s[64:65]
	s_mul_hi_u32 s0, s59, s62
	s_mul_hi_u32 s55, s59, s63
	s_add_co_u32 s3, s64, s3
	s_wait_alu 0xfffe
	s_add_co_ci_u32 s34, s65, s0
	s_mul_i32 s62, s59, s63
	s_add_co_ci_u32 s63, s55, 0
	s_wait_alu 0xfffe
	s_add_nc_u64 s[62:63], s[34:35], s[62:63]
	s_wait_alu 0xfffe
	s_add_co_u32 s58, s58, s62
	s_cselect_b32 s0, -1, 0
	s_wait_alu 0xfffe
	s_cmp_lg_u32 s0, 0
	s_add_co_ci_u32 s59, s59, s63
	s_wait_alu 0xfffe
	s_mul_u64 s[60:61], s[60:61], s[58:59]
	s_wait_alu 0xfffe
	s_mul_hi_u32 s63, s58, s61
	s_mul_i32 s62, s58, s61
	s_mul_hi_u32 s34, s58, s60
	s_mul_i32 s3, s59, s60
	s_wait_alu 0xfffe
	s_add_nc_u64 s[62:63], s[34:35], s[62:63]
	s_mul_hi_u32 s0, s59, s60
	s_mul_hi_u32 s55, s59, s61
	s_wait_alu 0xfffe
	s_add_co_u32 s3, s62, s3
	s_add_co_ci_u32 s34, s63, s0
	s_mul_i32 s60, s59, s61
	s_add_co_ci_u32 s61, s55, 0
	s_wait_alu 0xfffe
	s_add_nc_u64 s[60:61], s[34:35], s[60:61]
	s_wait_alu 0xfffe
	s_add_co_u32 s0, s58, s60
	s_cselect_b32 s3, -1, 0
	s_wait_alu 0xfffe
	v_mul_hi_u32 v18, v16, s0
	s_cmp_lg_u32 s3, 0
	v_mad_co_u64_u32 v[12:13], null, v17, s0, 0
	s_add_co_ci_u32 s3, s59, s61
	s_wait_alu 0xfffe
	v_mad_co_u64_u32 v[10:11], null, v16, s3, 0
	v_mad_co_u64_u32 v[14:15], null, v17, s3, 0
	s_delay_alu instid0(VALU_DEP_2) | instskip(SKIP_1) | instid1(VALU_DEP_3)
	v_add_co_u32 v10, vcc_lo, v18, v10
	s_wait_alu 0xfffd
	v_add_co_ci_u32_e64 v11, null, 0, v11, vcc_lo
	s_delay_alu instid0(VALU_DEP_2) | instskip(SKIP_1) | instid1(VALU_DEP_2)
	v_add_co_u32 v10, vcc_lo, v10, v12
	s_wait_alu 0xfffd
	v_add_co_ci_u32_e32 v10, vcc_lo, v11, v13, vcc_lo
	s_wait_alu 0xfffd
	v_add_co_ci_u32_e32 v11, vcc_lo, 0, v15, vcc_lo
	s_delay_alu instid0(VALU_DEP_2) | instskip(SKIP_1) | instid1(VALU_DEP_2)
	v_add_co_u32 v12, vcc_lo, v10, v14
	s_wait_alu 0xfffd
	v_add_co_ci_u32_e64 v13, null, 0, v11, vcc_lo
	s_delay_alu instid0(VALU_DEP_2) | instskip(SKIP_1) | instid1(VALU_DEP_3)
	v_mul_lo_u32 v14, s57, v12
	v_mad_co_u64_u32 v[10:11], null, s56, v12, 0
	v_mul_lo_u32 v15, s56, v13
	s_delay_alu instid0(VALU_DEP_2) | instskip(NEXT) | instid1(VALU_DEP_2)
	v_sub_co_u32 v10, vcc_lo, v16, v10
	v_add3_u32 v11, v11, v15, v14
	v_add_co_u32 v15, s0, v12, 2
	s_wait_alu 0xf1ff
	v_add_co_ci_u32_e64 v16, null, 0, v13, s0
	s_delay_alu instid0(VALU_DEP_3) | instskip(SKIP_3) | instid1(VALU_DEP_3)
	v_sub_nc_u32_e32 v14, v17, v11
	v_sub_co_u32 v18, s0, v10, s56
	s_wait_alu 0xfffd
	v_sub_co_ci_u32_e64 v11, null, v17, v11, vcc_lo
	v_subrev_co_ci_u32_e64 v14, null, s57, v14, vcc_lo
	s_delay_alu instid0(VALU_DEP_3) | instskip(SKIP_1) | instid1(VALU_DEP_2)
	v_cmp_le_u32_e32 vcc_lo, s56, v18
	s_wait_alu 0xf1ff
	v_subrev_co_ci_u32_e64 v14, null, 0, v14, s0
	s_wait_alu 0xfffd
	v_cndmask_b32_e64 v17, 0, -1, vcc_lo
	s_delay_alu instid0(VALU_DEP_2)
	v_cmp_le_u32_e32 vcc_lo, s57, v14
	s_wait_alu 0xfffd
	v_cndmask_b32_e64 v18, 0, -1, vcc_lo
	v_cmp_le_u32_e32 vcc_lo, s56, v10
	s_wait_alu 0xfffd
	v_cndmask_b32_e64 v10, 0, -1, vcc_lo
	;; [unrolled: 3-line block ×3, first 2 shown]
	v_cmp_eq_u32_e32 vcc_lo, s57, v14
	s_wait_alu 0xfffd
	v_cndmask_b32_e32 v14, v18, v17, vcc_lo
	v_add_co_u32 v17, vcc_lo, v12, 1
	s_wait_alu 0xfffd
	v_add_co_ci_u32_e64 v18, null, 0, v13, vcc_lo
	v_cmp_eq_u32_e32 vcc_lo, s57, v11
	s_wait_alu 0xfffd
	v_cndmask_b32_e32 v10, v19, v10, vcc_lo
	v_cmp_ne_u32_e32 vcc_lo, 0, v14
	s_wait_alu 0xfffd
	v_cndmask_b32_e32 v11, v18, v16, vcc_lo
	s_delay_alu instid0(VALU_DEP_3) | instskip(SKIP_2) | instid1(VALU_DEP_2)
	v_cmp_ne_u32_e64 s0, 0, v10
	v_cndmask_b32_e32 v10, v17, v15, vcc_lo
	s_wait_alu 0xf1ff
	v_cndmask_b32_e64 v11, v13, v11, s0
	s_delay_alu instid0(VALU_DEP_2) | instskip(NEXT) | instid1(VALU_DEP_2)
	v_cndmask_b32_e64 v10, v12, v10, s0
	v_xor_b32_e32 v11, v11, v3
	s_delay_alu instid0(VALU_DEP_2) | instskip(NEXT) | instid1(VALU_DEP_1)
	v_xor_b32_e32 v10, v10, v3
	v_sub_co_u32 v12, vcc_lo, v10, v3
	s_wait_alu 0xfffd
	s_delay_alu instid0(VALU_DEP_3)
	v_sub_co_ci_u32_e64 v13, null, v11, v3, vcc_lo
                                        ; implicit-def: $vgpr10
	s_and_not1_saveexec_b32 s0, s1
	s_cbranch_execz .LBB24_25
.LBB24_27:                              ;   in Loop: Header=BB24_3 Depth=1
	v_cvt_f32_u32_e32 v3, s20
	s_sub_co_i32 s1, 0, s20
	v_mov_b32_e32 v13, v2
	s_delay_alu instid0(VALU_DEP_2) | instskip(NEXT) | instid1(TRANS32_DEP_1)
	v_rcp_iflag_f32_e32 v3, v3
	v_mul_f32_e32 v3, 0x4f7ffffe, v3
	s_delay_alu instid0(VALU_DEP_1) | instskip(SKIP_1) | instid1(VALU_DEP_1)
	v_cvt_u32_f32_e32 v3, v3
	s_wait_alu 0xfffe
	v_mul_lo_u32 v11, s1, v3
	s_delay_alu instid0(VALU_DEP_1) | instskip(NEXT) | instid1(VALU_DEP_1)
	v_mul_hi_u32 v11, v3, v11
	v_add_nc_u32_e32 v3, v3, v11
	s_delay_alu instid0(VALU_DEP_1) | instskip(NEXT) | instid1(VALU_DEP_1)
	v_mul_hi_u32 v3, v10, v3
	v_mul_lo_u32 v11, v3, s20
	s_delay_alu instid0(VALU_DEP_1) | instskip(SKIP_1) | instid1(VALU_DEP_2)
	v_sub_nc_u32_e32 v10, v10, v11
	v_add_nc_u32_e32 v11, 1, v3
	v_subrev_nc_u32_e32 v12, s20, v10
	v_cmp_le_u32_e32 vcc_lo, s20, v10
	s_wait_alu 0xfffd
	s_delay_alu instid0(VALU_DEP_2) | instskip(NEXT) | instid1(VALU_DEP_1)
	v_dual_cndmask_b32 v10, v10, v12 :: v_dual_cndmask_b32 v3, v3, v11
	v_cmp_le_u32_e32 vcc_lo, s20, v10
	s_delay_alu instid0(VALU_DEP_2) | instskip(SKIP_1) | instid1(VALU_DEP_1)
	v_add_nc_u32_e32 v11, 1, v3
	s_wait_alu 0xfffd
	v_cndmask_b32_e32 v12, v3, v11, vcc_lo
	s_or_b32 exec_lo, exec_lo, s0
	s_delay_alu instid0(SALU_CYCLE_1)
	s_and_not1_b32 vcc_lo, exec_lo, s75
	s_wait_alu 0xfffe
	s_cbranch_vccnz .LBB24_2
.LBB24_28:                              ;   in Loop: Header=BB24_3 Depth=1
	v_add_co_u32 v3, s0, s26, v4
	s_wait_alu 0xf1ff
	v_add_co_ci_u32_e64 v14, null, s27, v5, s0
	v_add_co_u32 v10, vcc_lo, v12, 1
	v_add_co_u32 v12, s0, v6, 1
	s_delay_alu instid0(VALU_DEP_3)
	v_mul_lo_u32 v18, s18, v14
	v_mul_lo_u32 v19, s19, v3
	v_mad_co_u64_u32 v[14:15], null, s18, v3, v[8:9]
	s_wait_alu 0xfffd
	v_add_co_ci_u32_e64 v11, null, 0, v13, vcc_lo
	s_wait_alu 0xf1ff
	v_add_co_ci_u32_e64 v13, null, 0, v7, s0
	s_load_b32 s56, s[28:29], 0x4
	v_cmp_gt_i64_e32 vcc_lo, s[18:19], v[10:11]
	v_add3_u32 v15, v19, v15, v18
	v_cmp_gt_i64_e64 s0, s[16:17], v[12:13]
	v_lshlrev_b64_e32 v[16:17], 1, v[0:1]
	s_mov_b32 s57, s35
	s_mov_b64 s[62:63], s[38:39]
	s_wait_alu 0xfffd
	v_cndmask_b32_e32 v7, s19, v11, vcc_lo
	v_cndmask_b32_e32 v6, s18, v10, vcc_lo
	v_cndmask_b32_e64 v11, s17, v13, s0
	v_cndmask_b32_e64 v10, s16, v12, s0
	v_lshlrev_b64_e32 v[12:13], 3, v[14:15]
	v_lshlrev_b64_e32 v[14:15], 1, v[14:15]
	v_add_co_u32 v3, vcc_lo, s30, v16
	s_wait_alu 0xfffd
	v_add_co_ci_u32_e64 v34, null, s31, v17, vcc_lo
	s_delay_alu instid0(VALU_DEP_4)
	v_add_co_u32 v12, vcc_lo, s6, v12
	s_wait_alu 0xfffd
	v_add_co_ci_u32_e64 v13, null, s7, v13, vcc_lo
	v_add_co_u32 v14, vcc_lo, s4, v14
	v_cmp_lt_i64_e64 s0, v[4:5], v[10:11]
	v_cmp_lt_i64_e64 s1, v[8:9], v[6:7]
	s_wait_alu 0xfffd
	v_add_co_ci_u32_e64 v15, null, s5, v15, vcc_lo
	s_wait_kmcnt 0x0
	s_wait_alu 0xfffe
	s_mul_u64 s[58:59], s[42:43], s[56:57]
	s_mul_u64 s[60:61], s[48:49], s[56:57]
	s_branch .LBB24_30
.LBB24_29:                              ;   in Loop: Header=BB24_30 Depth=2
	s_add_nc_u64 s[62:63], s[62:63], s[56:57]
	v_add_co_u32 v12, vcc_lo, v12, s58
	s_wait_alu 0xfffe
	v_cmp_ge_i64_e64 s2, s[62:63], s[8:9]
	s_wait_alu 0xfffd
	v_add_co_ci_u32_e64 v13, null, s59, v13, vcc_lo
	v_add_co_u32 v14, vcc_lo, v14, s60
	s_wait_alu 0xfffd
	v_add_co_ci_u32_e64 v15, null, s61, v15, vcc_lo
	s_and_b32 vcc_lo, exec_lo, s2
	s_wait_alu 0xfffe
	s_cbranch_vccnz .LBB24_2
.LBB24_30:                              ;   Parent Loop BB24_3 Depth=1
                                        ; =>  This Loop Header: Depth=2
                                        ;       Child Loop BB24_34 Depth 3
                                        ;         Child Loop BB24_38 Depth 4
                                        ;           Child Loop BB24_41 Depth 5
	s_and_not1_b32 vcc_lo, exec_lo, s76
	s_wait_alu 0xfffe
	s_cbranch_vccnz .LBB24_29
; %bb.31:                               ;   in Loop: Header=BB24_30 Depth=2
	s_load_b32 s34, s[28:29], 0x8
	v_dual_mov_b32 v17, v15 :: v_dual_mov_b32 v16, v14
	v_dual_mov_b32 v19, v13 :: v_dual_mov_b32 v18, v12
	s_mul_u64 s[64:65], s[62:63], s[10:11]
	s_mov_b64 s[70:71], s[36:37]
	s_wait_kmcnt 0x0
	s_mul_u64 s[66:67], s[44:45], s[34:35]
	s_mul_u64 s[68:69], s[50:51], s[34:35]
	s_branch .LBB24_34
.LBB24_32:                              ;   in Loop: Header=BB24_34 Depth=3
	s_or_b32 exec_lo, exec_lo, s55
	v_cvt_f16_f32_e32 v20, v35
.LBB24_33:                              ;   in Loop: Header=BB24_34 Depth=3
	s_wait_alu 0xfffe
	s_or_b32 exec_lo, exec_lo, s3
	s_add_nc_u64 s[2:3], s[70:71], s[64:65]
	s_add_nc_u64 s[70:71], s[70:71], s[34:35]
	s_wait_alu 0xfffe
	s_mul_u64 s[2:3], s[12:13], s[2:3]
	s_wait_alu 0xfffe
	s_lshl_b64 s[2:3], s[2:3], 1
	s_wait_alu 0xfffe
	v_add_co_u32 v21, vcc_lo, v3, s2
	s_wait_alu 0xfffd
	v_add_co_ci_u32_e64 v22, null, s3, v34, vcc_lo
	v_add_co_u32 v18, vcc_lo, v18, s66
	v_cmp_ge_i64_e64 s2, s[70:71], s[10:11]
	s_wait_alu 0xfffd
	v_add_co_ci_u32_e64 v19, null, s67, v19, vcc_lo
	v_add_co_u32 v16, vcc_lo, v16, s68
	s_wait_alu 0xfffd
	v_add_co_ci_u32_e64 v17, null, s69, v17, vcc_lo
	s_and_b32 vcc_lo, exec_lo, s2
	global_store_b16 v[21:22], v20, off
	s_wait_alu 0xfffe
	s_cbranch_vccnz .LBB24_29
.LBB24_34:                              ;   Parent Loop BB24_3 Depth=1
                                        ;     Parent Loop BB24_30 Depth=2
                                        ; =>    This Loop Header: Depth=3
                                        ;         Child Loop BB24_38 Depth 4
                                        ;           Child Loop BB24_41 Depth 5
	v_mov_b32_e32 v20, 0
	s_and_saveexec_b32 s3, s0
	s_cbranch_execz .LBB24_33
; %bb.35:                               ;   in Loop: Header=BB24_34 Depth=3
	v_mov_b32_e32 v21, v17
	v_mov_b32_e32 v23, v19
	;; [unrolled: 1-line block ×3, first 2 shown]
	v_dual_mov_b32 v35, 0 :: v_dual_mov_b32 v20, v16
	v_mov_b32_e32 v22, v18
	v_mov_b32_e32 v24, v4
	s_mov_b32 s55, 0
	s_branch .LBB24_38
.LBB24_36:                              ;   in Loop: Header=BB24_38 Depth=4
	s_or_b32 exec_lo, exec_lo, s80
.LBB24_37:                              ;   in Loop: Header=BB24_38 Depth=4
	s_delay_alu instid0(SALU_CYCLE_1)
	s_or_b32 exec_lo, exec_lo, s79
	v_add_co_u32 v24, vcc_lo, v24, 1
	s_wait_alu 0xfffd
	v_add_co_ci_u32_e64 v25, null, 0, v25, vcc_lo
	v_add_co_u32 v22, vcc_lo, v22, s46
	s_wait_alu 0xfffd
	v_add_co_ci_u32_e64 v23, null, s47, v23, vcc_lo
	s_delay_alu instid0(VALU_DEP_3)
	v_cmp_ge_i64_e32 vcc_lo, v[24:25], v[10:11]
	v_add_co_u32 v20, s2, v20, s52
	s_wait_alu 0xf1ff
	v_add_co_ci_u32_e64 v21, null, s53, v21, s2
	s_wait_alu 0xfffe
	s_or_b32 s55, vcc_lo, s55
	s_wait_alu 0xfffe
	s_and_not1_b32 exec_lo, exec_lo, s55
	s_cbranch_execz .LBB24_32
.LBB24_38:                              ;   Parent Loop BB24_3 Depth=1
                                        ;     Parent Loop BB24_30 Depth=2
                                        ;       Parent Loop BB24_34 Depth=3
                                        ; =>      This Loop Header: Depth=4
                                        ;           Child Loop BB24_41 Depth 5
	s_and_saveexec_b32 s79, s1
	s_cbranch_execz .LBB24_37
; %bb.39:                               ;   in Loop: Header=BB24_38 Depth=4
	v_dual_mov_b32 v27, v21 :: v_dual_mov_b32 v26, v20
	v_dual_mov_b32 v29, v23 :: v_dual_mov_b32 v28, v22
	;; [unrolled: 1-line block ×3, first 2 shown]
	s_mov_b32 s80, 0
	s_branch .LBB24_41
.LBB24_40:                              ;   in Loop: Header=BB24_41 Depth=5
	s_wait_alu 0xfffe
	s_or_b32 exec_lo, exec_lo, s2
	v_add_co_u32 v30, vcc_lo, v30, 1
	s_wait_alu 0xfffd
	v_add_co_ci_u32_e64 v31, null, 0, v31, vcc_lo
	v_add_co_u32 v28, vcc_lo, v28, 8
	s_wait_alu 0xfffd
	v_add_co_ci_u32_e64 v29, null, 0, v29, vcc_lo
	s_delay_alu instid0(VALU_DEP_3) | instskip(SKIP_4) | instid1(SALU_CYCLE_1)
	v_cmp_ge_i64_e32 vcc_lo, v[30:31], v[6:7]
	v_add_co_u32 v26, s2, v26, 2
	s_wait_alu 0xf1ff
	v_add_co_ci_u32_e64 v27, null, 0, v27, s2
	s_or_b32 s80, vcc_lo, s80
	s_and_not1_b32 exec_lo, exec_lo, s80
	s_cbranch_execz .LBB24_36
.LBB24_41:                              ;   Parent Loop BB24_3 Depth=1
                                        ;     Parent Loop BB24_30 Depth=2
                                        ;       Parent Loop BB24_34 Depth=3
                                        ;         Parent Loop BB24_38 Depth=4
                                        ; =>        This Inner Loop Header: Depth=5
	global_load_b64 v[36:37], v[28:29], off
	s_mov_b32 s2, exec_lo
	s_wait_loadcnt 0x0
	v_cmpx_eq_u64_e64 v[36:37], v[0:1]
	s_cbranch_execz .LBB24_40
; %bb.42:                               ;   in Loop: Header=BB24_41 Depth=5
	global_load_u16 v36, v[26:27], off
	s_wait_loadcnt 0x0
	v_cvt_f32_f16_e32 v36, v36
	s_delay_alu instid0(VALU_DEP_1)
	v_add_f32_e32 v35, v35, v36
	s_branch .LBB24_40
.LBB24_43:
	s_endpgm
	.section	.rodata,"a",@progbits
	.p2align	6, 0x0
	.amdhsa_kernel _ZN2at6native12_GLOBAL__N_122max_pool_backward_nchwIN3c104HalfEflEEvPKT_PKlT1_SA_SA_SA_SA_SA_iiiiiiiiPS5_
		.amdhsa_group_segment_fixed_size 0
		.amdhsa_private_segment_fixed_size 0
		.amdhsa_kernarg_size 360
		.amdhsa_user_sgpr_count 2
		.amdhsa_user_sgpr_dispatch_ptr 0
		.amdhsa_user_sgpr_queue_ptr 0
		.amdhsa_user_sgpr_kernarg_segment_ptr 1
		.amdhsa_user_sgpr_dispatch_id 0
		.amdhsa_user_sgpr_private_segment_size 0
		.amdhsa_wavefront_size32 1
		.amdhsa_uses_dynamic_stack 0
		.amdhsa_enable_private_segment 0
		.amdhsa_system_sgpr_workgroup_id_x 1
		.amdhsa_system_sgpr_workgroup_id_y 1
		.amdhsa_system_sgpr_workgroup_id_z 1
		.amdhsa_system_sgpr_workgroup_info 0
		.amdhsa_system_vgpr_workitem_id 0
		.amdhsa_next_free_vgpr 38
		.amdhsa_next_free_sgpr 81
		.amdhsa_reserve_vcc 1
		.amdhsa_float_round_mode_32 0
		.amdhsa_float_round_mode_16_64 0
		.amdhsa_float_denorm_mode_32 3
		.amdhsa_float_denorm_mode_16_64 3
		.amdhsa_fp16_overflow 0
		.amdhsa_workgroup_processor_mode 1
		.amdhsa_memory_ordered 1
		.amdhsa_forward_progress 1
		.amdhsa_inst_pref_size 50
		.amdhsa_round_robin_scheduling 0
		.amdhsa_exception_fp_ieee_invalid_op 0
		.amdhsa_exception_fp_denorm_src 0
		.amdhsa_exception_fp_ieee_div_zero 0
		.amdhsa_exception_fp_ieee_overflow 0
		.amdhsa_exception_fp_ieee_underflow 0
		.amdhsa_exception_fp_ieee_inexact 0
		.amdhsa_exception_int_div_zero 0
	.end_amdhsa_kernel
	.section	.text._ZN2at6native12_GLOBAL__N_122max_pool_backward_nchwIN3c104HalfEflEEvPKT_PKlT1_SA_SA_SA_SA_SA_iiiiiiiiPS5_,"axG",@progbits,_ZN2at6native12_GLOBAL__N_122max_pool_backward_nchwIN3c104HalfEflEEvPKT_PKlT1_SA_SA_SA_SA_SA_iiiiiiiiPS5_,comdat
.Lfunc_end24:
	.size	_ZN2at6native12_GLOBAL__N_122max_pool_backward_nchwIN3c104HalfEflEEvPKT_PKlT1_SA_SA_SA_SA_SA_iiiiiiiiPS5_, .Lfunc_end24-_ZN2at6native12_GLOBAL__N_122max_pool_backward_nchwIN3c104HalfEflEEvPKT_PKlT1_SA_SA_SA_SA_SA_iiiiiiiiPS5_
                                        ; -- End function
	.set _ZN2at6native12_GLOBAL__N_122max_pool_backward_nchwIN3c104HalfEflEEvPKT_PKlT1_SA_SA_SA_SA_SA_iiiiiiiiPS5_.num_vgpr, 38
	.set _ZN2at6native12_GLOBAL__N_122max_pool_backward_nchwIN3c104HalfEflEEvPKT_PKlT1_SA_SA_SA_SA_SA_iiiiiiiiPS5_.num_agpr, 0
	.set _ZN2at6native12_GLOBAL__N_122max_pool_backward_nchwIN3c104HalfEflEEvPKT_PKlT1_SA_SA_SA_SA_SA_iiiiiiiiPS5_.numbered_sgpr, 81
	.set _ZN2at6native12_GLOBAL__N_122max_pool_backward_nchwIN3c104HalfEflEEvPKT_PKlT1_SA_SA_SA_SA_SA_iiiiiiiiPS5_.num_named_barrier, 0
	.set _ZN2at6native12_GLOBAL__N_122max_pool_backward_nchwIN3c104HalfEflEEvPKT_PKlT1_SA_SA_SA_SA_SA_iiiiiiiiPS5_.private_seg_size, 0
	.set _ZN2at6native12_GLOBAL__N_122max_pool_backward_nchwIN3c104HalfEflEEvPKT_PKlT1_SA_SA_SA_SA_SA_iiiiiiiiPS5_.uses_vcc, 1
	.set _ZN2at6native12_GLOBAL__N_122max_pool_backward_nchwIN3c104HalfEflEEvPKT_PKlT1_SA_SA_SA_SA_SA_iiiiiiiiPS5_.uses_flat_scratch, 0
	.set _ZN2at6native12_GLOBAL__N_122max_pool_backward_nchwIN3c104HalfEflEEvPKT_PKlT1_SA_SA_SA_SA_SA_iiiiiiiiPS5_.has_dyn_sized_stack, 0
	.set _ZN2at6native12_GLOBAL__N_122max_pool_backward_nchwIN3c104HalfEflEEvPKT_PKlT1_SA_SA_SA_SA_SA_iiiiiiiiPS5_.has_recursion, 0
	.set _ZN2at6native12_GLOBAL__N_122max_pool_backward_nchwIN3c104HalfEflEEvPKT_PKlT1_SA_SA_SA_SA_SA_iiiiiiiiPS5_.has_indirect_call, 0
	.section	.AMDGPU.csdata,"",@progbits
; Kernel info:
; codeLenInByte = 6372
; TotalNumSgprs: 83
; NumVgprs: 38
; ScratchSize: 0
; MemoryBound: 0
; FloatMode: 240
; IeeeMode: 1
; LDSByteSize: 0 bytes/workgroup (compile time only)
; SGPRBlocks: 0
; VGPRBlocks: 4
; NumSGPRsForWavesPerEU: 83
; NumVGPRsForWavesPerEU: 38
; Occupancy: 16
; WaveLimiterHint : 0
; COMPUTE_PGM_RSRC2:SCRATCH_EN: 0
; COMPUTE_PGM_RSRC2:USER_SGPR: 2
; COMPUTE_PGM_RSRC2:TRAP_HANDLER: 0
; COMPUTE_PGM_RSRC2:TGID_X_EN: 1
; COMPUTE_PGM_RSRC2:TGID_Y_EN: 1
; COMPUTE_PGM_RSRC2:TGID_Z_EN: 1
; COMPUTE_PGM_RSRC2:TIDIG_COMP_CNT: 0
	.section	.text._ZN2at6native12_GLOBAL__N_122max_pool_backward_nhwcIN3c108BFloat16EfEEvPKT_PKlillliiiiiiiiiiiiiiiPS5_,"axG",@progbits,_ZN2at6native12_GLOBAL__N_122max_pool_backward_nhwcIN3c108BFloat16EfEEvPKT_PKlillliiiiiiiiiiiiiiiPS5_,comdat
	.globl	_ZN2at6native12_GLOBAL__N_122max_pool_backward_nhwcIN3c108BFloat16EfEEvPKT_PKlillliiiiiiiiiiiiiiiPS5_ ; -- Begin function _ZN2at6native12_GLOBAL__N_122max_pool_backward_nhwcIN3c108BFloat16EfEEvPKT_PKlillliiiiiiiiiiiiiiiPS5_
	.p2align	8
	.type	_ZN2at6native12_GLOBAL__N_122max_pool_backward_nhwcIN3c108BFloat16EfEEvPKT_PKlillliiiiiiiiiiiiiiiPS5_,@function
_ZN2at6native12_GLOBAL__N_122max_pool_backward_nhwcIN3c108BFloat16EfEEvPKT_PKlillliiiiiiiiiiiiiiiPS5_: ; @_ZN2at6native12_GLOBAL__N_122max_pool_backward_nhwcIN3c108BFloat16EfEEvPKT_PKlillliiiiiiiiiiiiiiiPS5_
; %bb.0:
	s_clause 0x3
	s_load_b32 s37, s[0:1], 0x10
	s_load_b128 s[24:27], s[0:1], 0x7c
	s_load_b256 s[4:11], s[0:1], 0x50
	s_load_b256 s[12:19], s[0:1], 0x30
	v_bfe_u32 v2, v0, 10, 10
	v_bfe_u32 v1, v0, 20, 10
	v_and_b32_e32 v4, 0x3ff, v0
	s_mov_b32 s2, ttmp9
	s_mov_b32 s23, exec_lo
	s_wait_kmcnt 0x0
	s_cvt_f32_u32 s3, s37
	s_lshr_b32 s11, s26, 16
	s_and_b32 s36, s26, 0xffff
	v_mad_u32_u24 v7, v1, s11, v2
	v_rcp_iflag_f32_e32 v3, s3
	s_mul_i32 s20, s10, s36
	s_and_b32 s33, s27, 0xffff
	s_mul_i32 s22, s20, s11
	v_mad_co_u64_u32 v[5:6], null, v7, s36, v[4:5]
	s_mul_i32 s22, s22, s33
	s_delay_alu instid0(TRANS32_DEP_1) | instskip(SKIP_2) | instid1(SALU_CYCLE_2)
	v_readfirstlane_b32 s3, v3
	s_mul_f32 s3, s3, 0x4f7ffffe
	s_wait_alu 0xfffe
	s_cvt_u32_f32 s21, s3
	s_sub_co_i32 s3, 0, s37
	s_wait_alu 0xfffe
	s_delay_alu instid0(SALU_CYCLE_1)
	s_mul_i32 s3, s3, s21
	s_wait_alu 0xfffe
	s_mul_hi_u32 s20, s21, s3
	s_mov_b32 s3, 0
	s_add_co_i32 s20, s21, s20
	s_wait_alu 0xfffe
	s_mov_b32 s21, s3
	v_cmpx_gt_u32_e64 s22, v5
	s_cbranch_execz .LBB25_3
; %bb.1:
	s_mul_i32 s26, s11, s36
	v_lshl_add_u32 v0, v5, 2, 0
	v_mov_b32_e32 v3, 0
	s_mul_i32 s26, s26, s33
	s_mov_b32 s28, s3
	s_lshl_b32 s27, s26, 2
.LBB25_2:                               ; =>This Inner Loop Header: Depth=1
	v_add_nc_u32_e32 v5, s26, v5
	ds_store_b32 v0, v3
	v_add_nc_u32_e32 v0, s27, v0
	v_cmp_le_u32_e32 vcc_lo, s22, v5
	s_or_b32 s28, vcc_lo, s28
	s_delay_alu instid0(SALU_CYCLE_1)
	s_and_not1_b32 exec_lo, exec_lo, s28
	s_cbranch_execnz .LBB25_2
.LBB25_3:
	s_or_b32 exec_lo, exec_lo, s23
	s_mul_u64 s[2:3], s[2:3], s[20:21]
	s_clause 0x1
	s_load_b128 s[20:23], s[0:1], 0x18
	s_load_b64 s[28:29], s[0:1], 0x28
	s_mov_b32 s31, 0
	s_mov_b32 s30, s25
	s_wait_dscnt 0x0
	s_barrier_signal -1
	s_barrier_wait -1
	global_inv scope:SCOPE_SE
	s_wait_kmcnt 0x0
	s_add_nc_u64 s[26:27], s[22:23], s[30:31]
	s_wait_alu 0xfffe
	s_add_nc_u64 s[34:35], s[26:27], -1
	s_mov_b32 s26, s31
	s_mov_b32 s27, s35
	s_wait_alu 0xfffe
	s_cmp_lg_u64 s[26:27], 0
	s_cbranch_scc0 .LBB25_60
; %bb.4:
	s_add_nc_u64 s[26:27], s[30:31], 0
	s_mov_b32 s43, s31
	s_wait_alu 0xfffe
	s_xor_b64 s[26:27], s[26:27], 0
	s_mov_b32 s47, s31
	s_wait_alu 0xfffe
	s_cvt_f32_u32 s2, s26
	s_cvt_f32_u32 s25, s27
	s_sub_nc_u64 s[40:41], 0, s[26:27]
	s_wait_alu 0xfffe
	s_delay_alu instid0(SALU_CYCLE_1) | instskip(SKIP_1) | instid1(SALU_CYCLE_2)
	s_fmamk_f32 s2, s25, 0x4f800000, s2
	s_wait_alu 0xfffe
	v_s_rcp_f32 s2, s2
	s_delay_alu instid0(TRANS32_DEP_1) | instskip(SKIP_1) | instid1(SALU_CYCLE_2)
	s_mul_f32 s2, s2, 0x5f7ffffc
	s_wait_alu 0xfffe
	s_mul_f32 s25, s2, 0x2f800000
	s_delay_alu instid0(SALU_CYCLE_3) | instskip(NEXT) | instid1(SALU_CYCLE_3)
	s_trunc_f32 s25, s25
	s_fmamk_f32 s2, s25, 0xcf800000, s2
	s_cvt_u32_f32 s39, s25
	s_wait_alu 0xfffe
	s_delay_alu instid0(SALU_CYCLE_1) | instskip(NEXT) | instid1(SALU_CYCLE_3)
	s_cvt_u32_f32 s38, s2
	s_mul_u64 s[44:45], s[40:41], s[38:39]
	s_delay_alu instid0(SALU_CYCLE_1)
	s_mul_hi_u32 s49, s38, s45
	s_mul_i32 s48, s38, s45
	s_mul_hi_u32 s42, s38, s44
	s_mul_i32 s25, s39, s44
	s_add_nc_u64 s[42:43], s[42:43], s[48:49]
	s_mul_hi_u32 s2, s39, s44
	s_mul_hi_u32 s50, s39, s45
	s_add_co_u32 s25, s42, s25
	s_wait_alu 0xfffe
	s_add_co_ci_u32 s46, s43, s2
	s_mul_i32 s44, s39, s45
	s_add_co_ci_u32 s45, s50, 0
	s_delay_alu instid0(SALU_CYCLE_1)
	s_add_nc_u64 s[42:43], s[46:47], s[44:45]
	s_mov_b32 s45, s31
	s_add_co_u32 s38, s38, s42
	s_cselect_b32 s2, -1, 0
	s_wait_alu 0xfffe
	s_cmp_lg_u32 s2, 0
	s_add_co_ci_u32 s39, s39, s43
	s_mov_b32 s43, s31
	s_mul_u64 s[40:41], s[40:41], s[38:39]
	s_delay_alu instid0(SALU_CYCLE_1)
	s_mul_hi_u32 s47, s38, s41
	s_mul_i32 s46, s38, s41
	s_mul_hi_u32 s42, s38, s40
	s_mul_i32 s25, s39, s40
	s_add_nc_u64 s[42:43], s[42:43], s[46:47]
	s_mul_hi_u32 s2, s39, s40
	s_mul_hi_u32 s48, s39, s41
	s_add_co_u32 s25, s42, s25
	s_wait_alu 0xfffe
	s_add_co_ci_u32 s44, s43, s2
	s_mul_i32 s40, s39, s41
	s_add_co_ci_u32 s41, s48, 0
	s_mov_b32 s43, s31
	s_add_nc_u64 s[40:41], s[44:45], s[40:41]
	s_delay_alu instid0(SALU_CYCLE_1) | instskip(SKIP_1) | instid1(SALU_CYCLE_1)
	s_add_co_u32 s2, s38, s40
	s_cselect_b32 s25, -1, 0
	s_cmp_lg_u32 s25, 0
	s_add_co_ci_u32 s25, s39, s41
	s_ashr_i32 s38, s35, 31
	s_delay_alu instid0(SALU_CYCLE_1) | instskip(NEXT) | instid1(SALU_CYCLE_1)
	s_mov_b32 s39, s38
	s_add_nc_u64 s[40:41], s[34:35], s[38:39]
	s_delay_alu instid0(SALU_CYCLE_1) | instskip(NEXT) | instid1(SALU_CYCLE_1)
	s_xor_b64 s[40:41], s[40:41], s[38:39]
	s_mul_hi_u32 s47, s40, s25
	s_mul_i32 s46, s40, s25
	s_wait_alu 0xfffe
	s_mul_hi_u32 s42, s40, s2
	s_mul_hi_u32 s44, s41, s2
	s_mul_i32 s2, s41, s2
	s_add_nc_u64 s[42:43], s[42:43], s[46:47]
	s_mul_hi_u32 s35, s41, s25
	s_wait_alu 0xfffe
	s_add_co_u32 s2, s42, s2
	s_add_co_ci_u32 s44, s43, s44
	s_mul_i32 s46, s41, s25
	s_add_co_ci_u32 s47, s35, 0
	s_delay_alu instid0(SALU_CYCLE_1) | instskip(NEXT) | instid1(SALU_CYCLE_1)
	s_add_nc_u64 s[42:43], s[44:45], s[46:47]
	s_mul_u64 s[44:45], s[26:27], s[42:43]
	s_add_nc_u64 s[46:47], s[42:43], 1
	s_sub_co_u32 s2, s40, s44
	s_cselect_b32 s25, -1, 0
	s_sub_co_i32 s35, s41, s45
	s_cmp_lg_u32 s25, 0
	s_add_nc_u64 s[48:49], s[42:43], 2
	s_sub_co_ci_u32 s35, s35, s27
	s_wait_alu 0xfffe
	s_sub_co_u32 s40, s2, s26
	s_cselect_b32 s44, -1, 0
	s_delay_alu instid0(SALU_CYCLE_1) | instskip(SKIP_1) | instid1(SALU_CYCLE_1)
	s_cmp_lg_u32 s44, 0
	s_sub_co_ci_u32 s35, s35, 0
	s_cmp_ge_u32 s35, s27
	s_cselect_b32 s44, -1, 0
	s_cmp_ge_u32 s40, s26
	s_cselect_b32 s40, -1, 0
	s_cmp_eq_u32 s35, s27
	s_cselect_b32 s35, s40, s44
	s_delay_alu instid0(SALU_CYCLE_1) | instskip(SKIP_4) | instid1(SALU_CYCLE_1)
	s_cmp_lg_u32 s35, 0
	s_cselect_b32 s35, s48, s46
	s_cselect_b32 s40, s49, s47
	s_cmp_lg_u32 s25, 0
	s_sub_co_ci_u32 s25, s41, s45
	s_cmp_ge_u32 s25, s27
	s_cselect_b32 s41, -1, 0
	s_cmp_ge_u32 s2, s26
	s_cselect_b32 s2, -1, 0
	s_cmp_eq_u32 s25, s27
	s_wait_alu 0xfffe
	s_cselect_b32 s2, s2, s41
	s_wait_alu 0xfffe
	s_cmp_lg_u32 s2, 0
	s_cselect_b32 s27, s40, s43
	s_cselect_b32 s26, s35, s42
	s_xor_b64 s[38:39], s[38:39], 0
	s_wait_alu 0xfffe
	s_xor_b64 s[26:27], s[26:27], s[38:39]
	s_wait_alu 0xfffe
	s_sub_nc_u64 s[26:27], s[26:27], s[38:39]
	s_and_not1_b32 vcc_lo, exec_lo, s31
	s_cbranch_vccnz .LBB25_6
.LBB25_5:
	v_cvt_f32_u32_e32 v0, s30
	s_sub_co_i32 s25, 0, s30
	s_delay_alu instid0(VALU_DEP_1) | instskip(NEXT) | instid1(TRANS32_DEP_1)
	v_rcp_iflag_f32_e32 v0, v0
	v_mul_f32_e32 v0, 0x4f7ffffe, v0
	s_delay_alu instid0(VALU_DEP_1) | instskip(NEXT) | instid1(VALU_DEP_1)
	v_cvt_u32_f32_e32 v0, v0
	v_readfirstlane_b32 s2, v0
	s_mul_i32 s25, s25, s2
	s_delay_alu instid0(SALU_CYCLE_1) | instskip(NEXT) | instid1(SALU_CYCLE_1)
	s_mul_hi_u32 s25, s2, s25
	s_add_co_i32 s2, s2, s25
	s_wait_alu 0xfffe
	s_mul_hi_u32 s2, s34, s2
	s_wait_alu 0xfffe
	s_mul_i32 s25, s2, s30
	s_add_co_i32 s26, s2, 1
	s_sub_co_i32 s25, s34, s25
	s_delay_alu instid0(SALU_CYCLE_1)
	s_sub_co_i32 s27, s25, s30
	s_cmp_ge_u32 s25, s30
	s_wait_alu 0xfffe
	s_cselect_b32 s2, s26, s2
	s_cselect_b32 s25, s27, s25
	s_wait_alu 0xfffe
	s_add_co_i32 s26, s2, 1
	s_cmp_ge_u32 s25, s30
	s_mov_b32 s27, 0
	s_wait_alu 0xfffe
	s_cselect_b32 s26, s26, s2
.LBB25_6:
	s_mov_b32 s25, 0
	s_delay_alu instid0(SALU_CYCLE_1)
	s_add_nc_u64 s[30:31], s[28:29], s[24:25]
	s_mov_b32 s34, s25
	s_wait_alu 0xfffe
	s_add_nc_u64 s[30:31], s[30:31], -1
	s_wait_alu 0xfffe
	s_mov_b32 s35, s31
	s_delay_alu instid0(SALU_CYCLE_1)
	s_cmp_lg_u64 s[34:35], 0
	s_cbranch_scc0 .LBB25_61
; %bb.7:
	s_add_nc_u64 s[34:35], s[24:25], 0
	s_mov_b32 s43, s25
	s_xor_b64 s[34:35], s[34:35], 0
	s_mov_b32 s47, s25
	s_cvt_f32_u32 s2, s34
	s_cvt_f32_u32 s38, s35
	s_sub_nc_u64 s[40:41], 0, s[34:35]
	s_wait_alu 0xfffe
	s_delay_alu instid0(SALU_CYCLE_1) | instskip(SKIP_1) | instid1(SALU_CYCLE_2)
	s_fmamk_f32 s2, s38, 0x4f800000, s2
	s_wait_alu 0xfffe
	v_s_rcp_f32 s2, s2
	s_delay_alu instid0(TRANS32_DEP_1) | instskip(SKIP_1) | instid1(SALU_CYCLE_2)
	s_mul_f32 s2, s2, 0x5f7ffffc
	s_wait_alu 0xfffe
	s_mul_f32 s38, s2, 0x2f800000
	s_delay_alu instid0(SALU_CYCLE_3) | instskip(NEXT) | instid1(SALU_CYCLE_3)
	s_trunc_f32 s38, s38
	s_fmamk_f32 s2, s38, 0xcf800000, s2
	s_cvt_u32_f32 s39, s38
	s_wait_alu 0xfffe
	s_delay_alu instid0(SALU_CYCLE_1) | instskip(NEXT) | instid1(SALU_CYCLE_3)
	s_cvt_u32_f32 s38, s2
	s_mul_u64 s[44:45], s[40:41], s[38:39]
	s_delay_alu instid0(SALU_CYCLE_1)
	s_mul_hi_u32 s49, s38, s45
	s_mul_i32 s48, s38, s45
	s_mul_hi_u32 s42, s38, s44
	s_mul_i32 s46, s39, s44
	s_add_nc_u64 s[42:43], s[42:43], s[48:49]
	s_mul_hi_u32 s2, s39, s44
	s_mul_hi_u32 s50, s39, s45
	s_add_co_u32 s42, s42, s46
	s_wait_alu 0xfffe
	s_add_co_ci_u32 s46, s43, s2
	s_mul_i32 s44, s39, s45
	s_add_co_ci_u32 s45, s50, 0
	s_delay_alu instid0(SALU_CYCLE_1)
	s_add_nc_u64 s[42:43], s[46:47], s[44:45]
	s_mov_b32 s45, s25
	s_add_co_u32 s38, s38, s42
	s_cselect_b32 s2, -1, 0
	s_wait_alu 0xfffe
	s_cmp_lg_u32 s2, 0
	s_add_co_ci_u32 s39, s39, s43
	s_mov_b32 s43, s25
	s_mul_u64 s[40:41], s[40:41], s[38:39]
	s_delay_alu instid0(SALU_CYCLE_1)
	s_mul_hi_u32 s47, s38, s41
	s_mul_i32 s46, s38, s41
	s_mul_hi_u32 s42, s38, s40
	s_mul_i32 s44, s39, s40
	s_add_nc_u64 s[42:43], s[42:43], s[46:47]
	s_mul_hi_u32 s2, s39, s40
	s_mul_hi_u32 s48, s39, s41
	s_mul_i32 s40, s39, s41
	s_add_co_u32 s41, s42, s44
	s_wait_alu 0xfffe
	s_add_co_ci_u32 s44, s43, s2
	s_add_co_ci_u32 s41, s48, 0
	s_mov_b32 s43, s25
	s_add_nc_u64 s[40:41], s[44:45], s[40:41]
	s_delay_alu instid0(SALU_CYCLE_1) | instskip(SKIP_1) | instid1(SALU_CYCLE_1)
	s_add_co_u32 s2, s38, s40
	s_cselect_b32 s38, -1, 0
	s_cmp_lg_u32 s38, 0
	s_add_co_ci_u32 s44, s39, s41
	s_ashr_i32 s38, s31, 31
	s_delay_alu instid0(SALU_CYCLE_1) | instskip(NEXT) | instid1(SALU_CYCLE_1)
	s_mov_b32 s39, s38
	s_add_nc_u64 s[40:41], s[30:31], s[38:39]
	s_delay_alu instid0(SALU_CYCLE_1) | instskip(NEXT) | instid1(SALU_CYCLE_1)
	s_xor_b64 s[40:41], s[40:41], s[38:39]
	s_mul_hi_u32 s47, s40, s44
	s_mul_i32 s46, s40, s44
	s_wait_alu 0xfffe
	s_mul_hi_u32 s42, s40, s2
	s_mul_hi_u32 s48, s41, s2
	s_mul_i32 s2, s41, s2
	s_add_nc_u64 s[42:43], s[42:43], s[46:47]
	s_mul_hi_u32 s31, s41, s44
	s_wait_alu 0xfffe
	s_add_co_u32 s2, s42, s2
	s_mul_i32 s46, s41, s44
	s_add_co_ci_u32 s44, s43, s48
	s_add_co_ci_u32 s47, s31, 0
	s_delay_alu instid0(SALU_CYCLE_1) | instskip(NEXT) | instid1(SALU_CYCLE_1)
	s_add_nc_u64 s[42:43], s[44:45], s[46:47]
	s_mul_u64 s[44:45], s[34:35], s[42:43]
	s_delay_alu instid0(SALU_CYCLE_1)
	s_sub_co_u32 s2, s40, s44
	s_cselect_b32 s31, -1, 0
	s_sub_co_i32 s40, s41, s45
	s_wait_alu 0xfffe
	s_cmp_lg_u32 s31, 0
	s_sub_co_ci_u32 s40, s40, s35
	s_sub_co_u32 s44, s2, s34
	s_cselect_b32 s46, -1, 0
	s_delay_alu instid0(SALU_CYCLE_1) | instskip(SKIP_2) | instid1(SALU_CYCLE_1)
	s_cmp_lg_u32 s46, 0
	s_add_nc_u64 s[46:47], s[42:43], 1
	s_sub_co_ci_u32 s40, s40, 0
	s_cmp_ge_u32 s40, s35
	s_cselect_b32 s48, -1, 0
	s_cmp_ge_u32 s44, s34
	s_cselect_b32 s44, -1, 0
	s_cmp_eq_u32 s40, s35
	s_cselect_b32 s40, s44, s48
	s_add_nc_u64 s[48:49], s[42:43], 2
	s_cmp_lg_u32 s40, 0
	s_cselect_b32 s40, s48, s46
	s_cselect_b32 s44, s49, s47
	s_cmp_lg_u32 s31, 0
	s_sub_co_ci_u32 s31, s41, s45
	s_wait_alu 0xfffe
	s_cmp_ge_u32 s31, s35
	s_cselect_b32 s41, -1, 0
	s_cmp_ge_u32 s2, s34
	s_cselect_b32 s2, -1, 0
	s_cmp_eq_u32 s31, s35
	s_wait_alu 0xfffe
	s_cselect_b32 s2, s2, s41
	s_wait_alu 0xfffe
	s_cmp_lg_u32 s2, 0
	s_cselect_b32 s35, s44, s43
	s_cselect_b32 s34, s40, s42
	s_xor_b64 s[38:39], s[38:39], 0
	s_delay_alu instid0(SALU_CYCLE_1) | instskip(NEXT) | instid1(SALU_CYCLE_1)
	s_xor_b64 s[34:35], s[34:35], s[38:39]
	s_sub_nc_u64 s[34:35], s[34:35], s[38:39]
	s_and_not1_b32 vcc_lo, exec_lo, s25
	s_cbranch_vccnz .LBB25_9
.LBB25_8:
	v_cvt_f32_u32_e32 v0, s24
	s_sub_co_i32 s25, 0, s24
	s_mov_b32 s35, 0
	s_delay_alu instid0(VALU_DEP_1) | instskip(NEXT) | instid1(TRANS32_DEP_1)
	v_rcp_iflag_f32_e32 v0, v0
	v_mul_f32_e32 v0, 0x4f7ffffe, v0
	s_delay_alu instid0(VALU_DEP_1) | instskip(NEXT) | instid1(VALU_DEP_1)
	v_cvt_u32_f32_e32 v0, v0
	v_readfirstlane_b32 s2, v0
	s_wait_alu 0xfffe
	s_mul_i32 s25, s25, s2
	s_wait_alu 0xfffe
	s_mul_hi_u32 s25, s2, s25
	s_wait_alu 0xfffe
	s_add_co_i32 s2, s2, s25
	s_wait_alu 0xfffe
	s_mul_hi_u32 s2, s30, s2
	s_wait_alu 0xfffe
	s_mul_i32 s25, s2, s24
	s_wait_alu 0xfffe
	s_sub_co_i32 s25, s30, s25
	s_add_co_i32 s30, s2, 1
	s_wait_alu 0xfffe
	s_sub_co_i32 s31, s25, s24
	s_cmp_ge_u32 s25, s24
	s_cselect_b32 s2, s30, s2
	s_wait_alu 0xfffe
	s_cselect_b32 s25, s31, s25
	s_add_co_i32 s30, s2, 1
	s_wait_alu 0xfffe
	s_cmp_ge_u32 s25, s24
	s_cselect_b32 s34, s30, s2
.LBB25_9:
	s_lshr_b32 s2, ttmp7, 16
	s_bfe_i64 s[24:25], s[26:27], 0x200000
	s_wait_alu 0xfffe
	v_mad_co_u64_u32 v[0:1], null, s2, s26, v[1:2]
	s_mov_b32 s2, exec_lo
	v_ashrrev_i32_e32 v1, 31, v0
	v_add_co_u32 v5, vcc_lo, s24, v0
	s_delay_alu instid0(VALU_DEP_1) | instskip(NEXT) | instid1(VALU_DEP_1)
	v_add_co_ci_u32_e64 v6, null, s25, v1, vcc_lo
	v_cmp_gt_i64_e32 vcc_lo, s[22:23], v[5:6]
	s_wait_alu 0xfffd
	v_cndmask_b32_e32 v19, s22, v5, vcc_lo
	s_delay_alu instid0(VALU_DEP_1)
	v_cmpx_lt_i32_e64 v0, v19
	s_cbranch_execz .LBB25_59
; %bb.10:
	s_and_b32 s2, ttmp7, 0xffff
	s_bfe_i64 s[30:31], s[34:35], 0x200000
	s_wait_alu 0xfffe
	v_mad_co_u64_u32 v[1:2], null, s2, s34, v[2:3]
	s_mul_i32 s2, s3, s37
	s_add_co_i32 s34, s3, 1
	s_wait_alu 0xfffe
	s_sub_co_i32 s2, ttmp9, s2
	s_clause 0x1
	s_load_b128 s[24:27], s[0:1], 0x0
	s_load_b64 s[0:1], s[0:1], 0x70
	s_sub_co_i32 s35, s2, s37
	s_cmp_ge_u32 s2, s37
	v_ashrrev_i32_e32 v3, 31, v1
	s_cselect_b32 s3, s34, s3
	s_wait_alu 0xfffe
	s_cselect_b32 s2, s35, s2
	s_add_co_i32 s34, s3, 1
	s_wait_alu 0xfffe
	s_cmp_ge_u32 s2, s37
	v_add_co_u32 v2, vcc_lo, s30, v1
	s_cselect_b32 s38, s34, s3
	s_mul_u64 s[22:23], s[22:23], s[20:21]
	s_mul_i32 s2, s38, s37
	s_wait_alu 0xfffd
	v_add_co_ci_u32_e64 v3, null, s31, v3, vcc_lo
	s_wait_alu 0xfffe
	s_sub_co_i32 s2, ttmp9, s2
	s_mul_i32 s30, s13, s12
	s_wait_alu 0xfffe
	s_ashr_i32 s3, s2, 31
	s_mul_u64 s[22:23], s[22:23], s[28:29]
	s_mul_i32 s30, s30, s2
	s_wait_alu 0xfffe
	s_mul_u64 s[2:3], s[22:23], s[2:3]
	v_cmp_gt_i64_e32 vcc_lo, s[28:29], v[2:3]
	s_wait_alu 0xfffe
	s_lshl_b64 s[2:3], s[2:3], 1
	s_abs_i32 s29, s16
	s_wait_kmcnt 0x0
	s_wait_alu 0xfffe
	s_add_nc_u64 s[22:23], s[0:1], s[2:3]
	s_cvt_f32_u32 s2, s29
	s_add_co_i32 s3, s14, -1
	s_wait_alu 0xfffd
	v_cndmask_b32_e32 v20, s28, v2, vcc_lo
	v_mad_co_u64_u32 v[2:3], null, s38, s36, v[4:5]
	s_wait_alu 0xfffe
	v_rcp_iflag_f32_e32 v5, s2
	s_abs_i32 s14, s17
	s_ashr_i32 s31, s30, 31
	s_cvt_f32_u32 s2, s14
	s_wait_alu 0xfffe
	s_mul_u64 s[30:31], s[20:21], s[30:31]
	s_add_co_i32 s38, s38, s9
	s_wait_alu 0xfffe
	s_lshl_b64 s[0:1], s[30:31], 1
	v_rcp_iflag_f32_e32 v6, s2
	s_add_nc_u64 s[24:25], s[24:25], s[0:1]
	s_lshl_b64 s[34:35], s[30:31], 3
	v_readfirstlane_b32 s1, v5
	v_mul_lo_u32 v5, s10, v7
	s_mul_i32 s30, s4, s3
	s_sub_co_i32 s3, 0, s29
	v_ashrrev_i32_e32 v3, 31, v2
	s_mul_f32 s1, s1, 0x4f7ffffe
	v_lshlrev_b32_e32 v7, 2, v4
	v_readfirstlane_b32 s2, v6
	s_wait_alu 0xfffe
	s_add_nc_u64 s[26:27], s[26:27], s[34:35]
	v_mul_lo_u32 v5, v5, s36
	s_cvt_u32_f32 s1, s1
	s_add_co_i32 s0, s15, -1
	s_mul_f32 s2, s2, 0x4f7ffffe
	v_mul_lo_u32 v21, s6, v2
	s_mul_i32 s3, s3, s1
	s_mul_i32 s5, s5, s0
	s_wait_alu 0xfffe
	s_mul_hi_u32 s3, s1, s3
	s_cvt_u32_f32 s2, s2
	v_dual_mov_b32 v23, 0 :: v_dual_lshlrev_b32 v6, 2, v5
	s_wait_alu 0xfffe
	s_add_co_i32 s35, s1, s3
	s_sub_co_i32 s1, 0, s14
	v_mad_co_u64_u32 v[4:5], null, s38, s36, v[4:5]
	v_cmp_gt_i64_e64 s0, s[20:21], v[2:3]
	s_mul_i32 s1, s1, s2
	v_add3_u32 v22, v6, v7, 0
	s_mul_i32 s34, s9, s36
	s_mul_hi_u32 s1, s2, s1
	s_not_b32 s31, s30
	s_not_b32 s15, s5
	s_ashr_i32 s10, s16, 31
	s_mov_b32 s16, 0
	s_ashr_i32 s17, s17, 31
	s_add_co_i32 s9, s2, s1
	s_wait_alu 0xfffe
	s_mul_i32 s6, s34, s6
	s_lshl_b32 s36, s36, 2
	v_cmp_lt_i32_e32 vcc_lo, v1, v20
                                        ; implicit-def: $vgpr24
                                        ; implicit-def: $vgpr25
                                        ; implicit-def: $vgpr26
                                        ; implicit-def: $vgpr27
	s_branch .LBB25_13
.LBB25_11:                              ;   in Loop: Header=BB25_13 Depth=1
	s_or_b32 exec_lo, exec_lo, s38
.LBB25_12:                              ;   in Loop: Header=BB25_13 Depth=1
	s_wait_alu 0xfffe
	s_or_b32 exec_lo, exec_lo, s37
	v_add_nc_u32_e32 v0, s33, v0
	s_delay_alu instid0(VALU_DEP_1)
	v_cmp_ge_i32_e64 s1, v0, v19
	s_or_b32 s16, s1, s16
	s_wait_alu 0xfffe
	s_and_not1_b32 exec_lo, exec_lo, s16
	s_cbranch_execz .LBB25_59
.LBB25_13:                              ; =>This Loop Header: Depth=1
                                        ;     Child Loop BB25_19 Depth 2
                                        ;       Child Loop BB25_28 Depth 3
                                        ;         Child Loop BB25_31 Depth 4
                                        ;           Child Loop BB25_34 Depth 5
                                        ;       Child Loop BB25_40 Depth 3
                                        ;       Child Loop BB25_51 Depth 3
	;; [unrolled: 1-line block ×3, first 2 shown]
	v_dual_mov_b32 v28, 0 :: v_dual_add_nc_u32 v5, s18, v0
	s_mov_b32 s2, exec_lo
	s_delay_alu instid0(VALU_DEP_1)
	v_cmpx_lt_i32_e64 s30, v5
	s_cbranch_execz .LBB25_15
; %bb.14:                               ;   in Loop: Header=BB25_13 Depth=1
	v_add_nc_u32_e32 v6, s31, v5
	s_delay_alu instid0(VALU_DEP_1) | instskip(NEXT) | instid1(VALU_DEP_1)
	v_sub_nc_u32_e32 v7, 0, v6
	v_max_i32_e32 v7, v6, v7
	v_ashrrev_i32_e32 v6, 31, v6
	s_delay_alu instid0(VALU_DEP_2) | instskip(NEXT) | instid1(VALU_DEP_2)
	v_mul_hi_u32 v8, v7, s35
	v_xor_b32_e32 v6, s10, v6
	s_delay_alu instid0(VALU_DEP_2) | instskip(NEXT) | instid1(VALU_DEP_1)
	v_mul_lo_u32 v9, v8, s29
	v_sub_nc_u32_e32 v7, v7, v9
	v_add_nc_u32_e32 v9, 1, v8
	s_delay_alu instid0(VALU_DEP_2) | instskip(SKIP_2) | instid1(VALU_DEP_1)
	v_subrev_nc_u32_e32 v10, s29, v7
	v_cmp_le_u32_e64 s1, s29, v7
	s_wait_alu 0xf1ff
	v_cndmask_b32_e64 v8, v8, v9, s1
	s_delay_alu instid0(VALU_DEP_3) | instskip(NEXT) | instid1(VALU_DEP_2)
	v_cndmask_b32_e64 v7, v7, v10, s1
	v_add_nc_u32_e32 v9, 1, v8
	s_delay_alu instid0(VALU_DEP_2) | instskip(SKIP_1) | instid1(VALU_DEP_1)
	v_cmp_le_u32_e64 s1, s29, v7
	s_wait_alu 0xf1ff
	v_cndmask_b32_e64 v7, v8, v9, s1
	s_delay_alu instid0(VALU_DEP_1) | instskip(NEXT) | instid1(VALU_DEP_1)
	v_xor_b32_e32 v7, v7, v6
	v_sub_nc_u32_e32 v6, v7, v6
	s_delay_alu instid0(VALU_DEP_1)
	v_add_nc_u32_e32 v28, 1, v6
.LBB25_15:                              ;   in Loop: Header=BB25_13 Depth=1
	s_wait_alu 0xfffe
	s_or_b32 exec_lo, exec_lo, s2
	s_and_saveexec_b32 s37, vcc_lo
	s_cbranch_execz .LBB25_12
; %bb.16:                               ;   in Loop: Header=BB25_13 Depth=1
	v_sub_nc_u32_e32 v6, 0, v5
	v_add_nc_u32_e32 v10, 1, v28
	v_mul_lo_u32 v30, v0, s28
	s_mov_b32 s38, 0
	v_mov_b32_e32 v34, v1
	v_max_i32_e32 v6, v5, v6
	v_ashrrev_i32_e32 v5, 31, v5
	v_mul_lo_u32 v31, s7, v10
	s_delay_alu instid0(VALU_DEP_3) | instskip(NEXT) | instid1(VALU_DEP_1)
	v_mul_hi_u32 v7, v6, s35
	v_mul_lo_u32 v8, v7, s29
	s_delay_alu instid0(VALU_DEP_1) | instskip(SKIP_1) | instid1(VALU_DEP_2)
	v_sub_nc_u32_e32 v6, v6, v8
	v_add_nc_u32_e32 v8, 1, v7
	v_subrev_nc_u32_e32 v9, s29, v6
	v_cmp_le_u32_e64 s1, s29, v6
	s_wait_alu 0xf1ff
	s_delay_alu instid0(VALU_DEP_1) | instskip(NEXT) | instid1(VALU_DEP_3)
	v_cndmask_b32_e64 v7, v7, v8, s1
	v_cndmask_b32_e64 v6, v6, v9, s1
	v_xor_b32_e32 v9, s10, v5
	s_delay_alu instid0(VALU_DEP_3) | instskip(NEXT) | instid1(VALU_DEP_3)
	v_add_nc_u32_e32 v8, 1, v7
	v_cmp_le_u32_e64 s1, s29, v6
	s_wait_alu 0xf1ff
	s_delay_alu instid0(VALU_DEP_1) | instskip(NEXT) | instid1(VALU_DEP_1)
	v_cndmask_b32_e64 v5, v7, v8, s1
	v_xor_b32_e32 v6, v5, v9
	v_mul_lo_u32 v5, v28, s7
	s_delay_alu instid0(VALU_DEP_2) | instskip(NEXT) | instid1(VALU_DEP_2)
	v_sub_nc_u32_e32 v6, v6, v9
	v_add_nc_u32_e32 v8, s7, v5
	s_delay_alu instid0(VALU_DEP_2) | instskip(SKIP_1) | instid1(VALU_DEP_3)
	v_add_nc_u32_e32 v7, 1, v6
	v_ashrrev_i32_e32 v6, 31, v5
	v_ashrrev_i32_e32 v9, 31, v8
	s_delay_alu instid0(VALU_DEP_3) | instskip(NEXT) | instid1(VALU_DEP_3)
	v_min_i32_e32 v29, s12, v7
	v_lshlrev_b64_e32 v[6:7], 3, v[5:6]
	s_delay_alu instid0(VALU_DEP_3) | instskip(NEXT) | instid1(VALU_DEP_3)
	v_lshlrev_b64_e32 v[8:9], 3, v[8:9]
	v_sub_nc_u32_e32 v11, v29, v28
	v_cmp_eq_u32_e64 s3, v10, v29
	s_delay_alu instid0(VALU_DEP_4)
	v_add_co_u32 v32, s1, s26, v6
	s_wait_alu 0xf1ff
	v_add_co_ci_u32_e64 v33, null, s27, v7, s1
	v_cmp_gt_i32_e64 s4, 3, v11
	v_cmp_gt_i32_e64 s1, v29, v28
	v_cmp_lt_i32_e64 s2, v10, v29
	s_xor_b32 s39, s3, -1
	s_xor_b32 s40, s4, -1
	s_branch .LBB25_19
.LBB25_17:                              ;   in Loop: Header=BB25_19 Depth=2
	s_or_b32 exec_lo, exec_lo, s41
.LBB25_18:                              ;   in Loop: Header=BB25_19 Depth=2
	s_wait_alu 0xfffe
	s_or_b32 exec_lo, exec_lo, s4
	v_add_nc_u32_e32 v34, s11, v34
	s_delay_alu instid0(VALU_DEP_1)
	v_cmp_ge_i32_e64 s3, v34, v20
	s_or_b32 s38, s3, s38
	s_wait_alu 0xfffe
	s_and_not1_b32 exec_lo, exec_lo, s38
	s_cbranch_execz .LBB25_11
.LBB25_19:                              ;   Parent Loop BB25_13 Depth=1
                                        ; =>  This Loop Header: Depth=2
                                        ;       Child Loop BB25_28 Depth 3
                                        ;         Child Loop BB25_31 Depth 4
                                        ;           Child Loop BB25_34 Depth 5
                                        ;       Child Loop BB25_40 Depth 3
                                        ;       Child Loop BB25_51 Depth 3
	;; [unrolled: 1-line block ×3, first 2 shown]
	v_dual_mov_b32 v17, 0 :: v_dual_add_nc_u32 v10, s19, v34
	s_mov_b32 s4, exec_lo
	s_delay_alu instid0(VALU_DEP_1)
	v_cmpx_lt_i32_e64 s5, v10
	s_cbranch_execz .LBB25_21
; %bb.20:                               ;   in Loop: Header=BB25_19 Depth=2
	v_add_nc_u32_e32 v11, s15, v10
	s_delay_alu instid0(VALU_DEP_1) | instskip(NEXT) | instid1(VALU_DEP_1)
	v_sub_nc_u32_e32 v12, 0, v11
	v_max_i32_e32 v12, v11, v12
	v_ashrrev_i32_e32 v11, 31, v11
	s_delay_alu instid0(VALU_DEP_2) | instskip(NEXT) | instid1(VALU_DEP_2)
	v_mul_hi_u32 v13, v12, s9
	v_xor_b32_e32 v11, s17, v11
	s_delay_alu instid0(VALU_DEP_2) | instskip(NEXT) | instid1(VALU_DEP_1)
	v_mul_lo_u32 v14, v13, s14
	v_sub_nc_u32_e32 v12, v12, v14
	v_add_nc_u32_e32 v14, 1, v13
	s_delay_alu instid0(VALU_DEP_2) | instskip(SKIP_2) | instid1(VALU_DEP_1)
	v_subrev_nc_u32_e32 v15, s14, v12
	v_cmp_le_u32_e64 s3, s14, v12
	s_wait_alu 0xf1ff
	v_cndmask_b32_e64 v13, v13, v14, s3
	s_delay_alu instid0(VALU_DEP_3) | instskip(NEXT) | instid1(VALU_DEP_2)
	v_cndmask_b32_e64 v12, v12, v15, s3
	v_add_nc_u32_e32 v14, 1, v13
	s_delay_alu instid0(VALU_DEP_2) | instskip(SKIP_1) | instid1(VALU_DEP_1)
	v_cmp_le_u32_e64 s3, s14, v12
	s_wait_alu 0xf1ff
	v_cndmask_b32_e64 v12, v13, v14, s3
	s_delay_alu instid0(VALU_DEP_1) | instskip(NEXT) | instid1(VALU_DEP_1)
	v_xor_b32_e32 v12, v12, v11
	v_sub_nc_u32_e32 v11, v12, v11
	s_delay_alu instid0(VALU_DEP_1)
	v_add_nc_u32_e32 v17, 1, v11
.LBB25_21:                              ;   in Loop: Header=BB25_19 Depth=2
	s_wait_alu 0xfffe
	s_or_b32 exec_lo, exec_lo, s4
	v_sub_nc_u32_e32 v11, 0, v10
	s_delay_alu instid0(VALU_DEP_1) | instskip(SKIP_1) | instid1(VALU_DEP_2)
	v_max_i32_e32 v11, v10, v11
	v_ashrrev_i32_e32 v10, 31, v10
	v_mul_hi_u32 v12, v11, s9
	s_delay_alu instid0(VALU_DEP_2) | instskip(NEXT) | instid1(VALU_DEP_2)
	v_xor_b32_e32 v10, s17, v10
	v_mul_lo_u32 v13, v12, s14
	s_delay_alu instid0(VALU_DEP_1) | instskip(SKIP_1) | instid1(VALU_DEP_2)
	v_sub_nc_u32_e32 v11, v11, v13
	v_add_nc_u32_e32 v13, 1, v12
	v_subrev_nc_u32_e32 v14, s14, v11
	v_cmp_le_u32_e64 s3, s14, v11
	s_wait_alu 0xf1ff
	s_delay_alu instid0(VALU_DEP_1) | instskip(NEXT) | instid1(VALU_DEP_3)
	v_cndmask_b32_e64 v12, v12, v13, s3
	v_cndmask_b32_e64 v11, v11, v14, s3
	s_delay_alu instid0(VALU_DEP_2) | instskip(NEXT) | instid1(VALU_DEP_2)
	v_add_nc_u32_e32 v13, 1, v12
	v_cmp_le_u32_e64 s3, s14, v11
	s_wait_alu 0xf1ff
	s_delay_alu instid0(VALU_DEP_1) | instskip(NEXT) | instid1(VALU_DEP_1)
	v_cndmask_b32_e64 v11, v12, v13, s3
	v_xor_b32_e32 v11, v11, v10
	s_delay_alu instid0(VALU_DEP_1) | instskip(SKIP_1) | instid1(VALU_DEP_2)
	v_sub_nc_u32_e32 v10, v11, v10
	v_add_nc_u32_e32 v11, 1, v17
	v_add_nc_u32_e32 v10, 1, v10
	s_delay_alu instid0(VALU_DEP_1) | instskip(SKIP_1) | instid1(VALU_DEP_2)
	v_min_i32_e32 v18, s13, v10
	v_add_nc_u32_e32 v10, v34, v30
	v_cmp_ne_u32_e64 s3, v11, v18
	s_or_b32 s3, s39, s3
	s_wait_alu 0xfffe
	s_and_saveexec_b32 s4, s3
	s_wait_alu 0xfffe
	s_xor_b32 s41, exec_lo, s4
	s_cbranch_execz .LBB25_53
; %bb.22:                               ;   in Loop: Header=BB25_19 Depth=2
	v_sub_nc_u32_e32 v12, v18, v17
	s_delay_alu instid0(VALU_DEP_1)
	v_cmp_lt_i32_e64 s3, 2, v12
	s_or_b32 s3, s40, s3
	s_wait_alu 0xfffe
	s_and_saveexec_b32 s4, s3
	s_wait_alu 0xfffe
	s_xor_b32 s42, exec_lo, s4
	s_cbranch_execnz .LBB25_25
; %bb.23:                               ;   in Loop: Header=BB25_19 Depth=2
	s_and_not1_saveexec_b32 s42, s42
	s_cbranch_execnz .LBB25_37
.LBB25_24:                              ;   in Loop: Header=BB25_19 Depth=2
	s_or_b32 exec_lo, exec_lo, s42
	s_and_saveexec_b32 s42, s0
	s_cbranch_execnz .LBB25_50
	s_branch .LBB25_52
.LBB25_25:                              ;   in Loop: Header=BB25_19 Depth=2
	s_and_saveexec_b32 s43, s1
	s_cbranch_execz .LBB25_36
; %bb.26:                               ;   in Loop: Header=BB25_19 Depth=2
	v_mad_co_u64_u32 v[12:13], null, s8, v17, v[5:6]
	v_cmp_gt_i32_e64 s3, v18, v17
	v_ashrrev_i32_e32 v11, 31, v10
	v_mov_b32_e32 v35, v28
	s_mov_b32 s44, 0
	s_branch .LBB25_28
.LBB25_27:                              ;   in Loop: Header=BB25_28 Depth=3
	s_or_b32 exec_lo, exec_lo, s45
	v_add_nc_u32_e32 v35, 1, v35
	v_add_nc_u32_e32 v12, s7, v12
	s_delay_alu instid0(VALU_DEP_2) | instskip(SKIP_1) | instid1(SALU_CYCLE_1)
	v_cmp_ge_i32_e64 s4, v35, v29
	s_or_b32 s44, s4, s44
	s_and_not1_b32 exec_lo, exec_lo, s44
	s_cbranch_execz .LBB25_36
.LBB25_28:                              ;   Parent Loop BB25_13 Depth=1
                                        ;     Parent Loop BB25_19 Depth=2
                                        ; =>    This Loop Header: Depth=3
                                        ;         Child Loop BB25_31 Depth 4
                                        ;           Child Loop BB25_34 Depth 5
	s_and_saveexec_b32 s45, s3
	s_cbranch_execz .LBB25_27
; %bb.29:                               ;   in Loop: Header=BB25_28 Depth=3
	v_mul_lo_u32 v13, v35, s7
	v_dual_mov_b32 v36, v12 :: v_dual_mov_b32 v39, v17
	s_mov_b32 s46, 0
	s_delay_alu instid0(VALU_DEP_2) | instskip(NEXT) | instid1(VALU_DEP_1)
	v_ashrrev_i32_e32 v14, 31, v13
	v_lshlrev_b64_e32 v[13:14], 3, v[13:14]
	s_delay_alu instid0(VALU_DEP_1) | instskip(SKIP_1) | instid1(VALU_DEP_2)
	v_add_co_u32 v37, s4, s26, v13
	s_wait_alu 0xf1ff
	v_add_co_ci_u32_e64 v38, null, s27, v14, s4
	s_branch .LBB25_31
.LBB25_30:                              ;   in Loop: Header=BB25_31 Depth=4
	s_or_b32 exec_lo, exec_lo, s47
	v_add_nc_u32_e32 v39, 1, v39
	v_add_nc_u32_e32 v36, s8, v36
	s_delay_alu instid0(VALU_DEP_2) | instskip(SKIP_1) | instid1(SALU_CYCLE_1)
	v_cmp_ge_i32_e64 s4, v39, v18
	s_or_b32 s46, s4, s46
	s_and_not1_b32 exec_lo, exec_lo, s46
	s_cbranch_execz .LBB25_27
.LBB25_31:                              ;   Parent Loop BB25_13 Depth=1
                                        ;     Parent Loop BB25_19 Depth=2
                                        ;       Parent Loop BB25_28 Depth=3
                                        ; =>      This Loop Header: Depth=4
                                        ;           Child Loop BB25_34 Depth 5
	s_and_saveexec_b32 s47, s0
	s_cbranch_execz .LBB25_30
; %bb.32:                               ;   in Loop: Header=BB25_31 Depth=4
	v_mul_lo_u32 v13, v39, s8
	v_mov_b32_e32 v40, v22
	s_mov_b32 s48, 0
	s_delay_alu instid0(VALU_DEP_2) | instskip(NEXT) | instid1(VALU_DEP_1)
	v_ashrrev_i32_e32 v14, 31, v13
	v_lshlrev_b64_e32 v[14:15], 3, v[13:14]
	v_mov_b32_e32 v13, v4
	s_delay_alu instid0(VALU_DEP_2) | instskip(SKIP_1) | instid1(VALU_DEP_3)
	v_add_co_u32 v41, s4, v37, v14
	s_wait_alu 0xf1ff
	v_add_co_ci_u32_e64 v42, null, v38, v15, s4
	v_mov_b32_e32 v15, v21
	s_branch .LBB25_34
.LBB25_33:                              ;   in Loop: Header=BB25_34 Depth=5
	s_wait_alu 0xfffe
	s_or_b32 exec_lo, exec_lo, s49
	v_ashrrev_i32_e32 v14, 31, v13
	v_add_nc_u32_e32 v15, s6, v15
	v_add_nc_u32_e32 v40, s36, v40
	s_delay_alu instid0(VALU_DEP_3)
	v_cmp_le_i64_e64 s4, s[20:21], v[13:14]
	v_add_nc_u32_e32 v13, s34, v13
	s_or_b32 s48, s4, s48
	s_wait_alu 0xfffe
	s_and_not1_b32 exec_lo, exec_lo, s48
	s_cbranch_execz .LBB25_30
.LBB25_34:                              ;   Parent Loop BB25_13 Depth=1
                                        ;     Parent Loop BB25_19 Depth=2
                                        ;       Parent Loop BB25_28 Depth=3
                                        ;         Parent Loop BB25_31 Depth=4
                                        ; =>        This Inner Loop Header: Depth=5
	s_delay_alu instid0(VALU_DEP_1) | instskip(SKIP_1) | instid1(VALU_DEP_1)
	v_ashrrev_i32_e32 v16, 31, v15
	s_mov_b32 s49, exec_lo
	v_lshlrev_b64_e32 v[43:44], 3, v[15:16]
	s_delay_alu instid0(VALU_DEP_1) | instskip(SKIP_1) | instid1(VALU_DEP_2)
	v_add_co_u32 v43, s4, v41, v43
	s_wait_alu 0xf1ff
	v_add_co_ci_u32_e64 v44, null, v42, v44, s4
	global_load_b64 v[43:44], v[43:44], off
	s_wait_loadcnt 0x0
	v_cmpx_eq_u64_e64 v[43:44], v[10:11]
	s_cbranch_execz .LBB25_33
; %bb.35:                               ;   in Loop: Header=BB25_34 Depth=5
	v_add_nc_u32_e32 v43, v36, v15
	ds_load_b32 v16, v40
	v_ashrrev_i32_e32 v44, 31, v43
	s_delay_alu instid0(VALU_DEP_1) | instskip(NEXT) | instid1(VALU_DEP_1)
	v_lshlrev_b64_e32 v[43:44], 1, v[43:44]
	v_add_co_u32 v43, s4, s24, v43
	s_wait_alu 0xf1ff
	s_delay_alu instid0(VALU_DEP_2) | instskip(SKIP_4) | instid1(VALU_DEP_1)
	v_add_co_ci_u32_e64 v44, null, s25, v44, s4
	global_load_u16 v14, v[43:44], off
	s_wait_loadcnt 0x0
	v_lshlrev_b32_e32 v14, 16, v14
	s_wait_dscnt 0x0
	v_add_f32_e32 v14, v16, v14
	ds_store_b32 v40, v14
	s_branch .LBB25_33
.LBB25_36:                              ;   in Loop: Header=BB25_19 Depth=2
	s_or_b32 exec_lo, exec_lo, s43
                                        ; implicit-def: $vgpr18
                                        ; implicit-def: $vgpr17
                                        ; implicit-def: $vgpr11
	s_and_not1_saveexec_b32 s42, s42
	s_cbranch_execz .LBB25_24
.LBB25_37:                              ;   in Loop: Header=BB25_19 Depth=2
	s_and_saveexec_b32 s43, s0
	s_cbranch_execz .LBB25_49
; %bb.38:                               ;   in Loop: Header=BB25_19 Depth=2
	v_mul_lo_u32 v12, v17, s8
	v_mov_b32_e32 v35, v22
	v_cmp_gt_i32_e64 s3, v18, v17
	v_cmp_lt_i32_e64 s4, v11, v18
	v_mov_b32_e32 v17, v21
	s_and_b32 s44, s1, s3
	v_add_nc_u32_e32 v14, s8, v12
	v_ashrrev_i32_e32 v13, 31, v12
	v_add_nc_u32_e32 v36, v31, v12
	v_add_nc_u32_e32 v37, v5, v12
	s_and_b32 s45, s1, s4
	v_ashrrev_i32_e32 v15, 31, v14
	v_add_nc_u32_e32 v38, v31, v14
	v_add_nc_u32_e32 v39, v5, v14
	v_lshlrev_b64_e32 v[11:12], 3, v[12:13]
	s_and_b32 s46, s2, s3
	v_lshlrev_b64_e32 v[13:14], 3, v[14:15]
	v_mov_b32_e32 v15, v4
	s_and_b32 s47, s2, s4
	s_mov_b32 s4, 0
	s_branch .LBB25_40
.LBB25_39:                              ;   in Loop: Header=BB25_40 Depth=3
	s_wait_alu 0xfffe
	s_or_b32 exec_lo, exec_lo, s51
	s_wait_loadcnt 0x0
	v_lshlrev_b32_e32 v16, 16, v27
	v_lshlrev_b32_e32 v18, 16, v26
	;; [unrolled: 1-line block ×3, first 2 shown]
	v_add_nc_u32_e32 v17, s6, v17
	v_lshlrev_b32_e32 v41, 16, v24
	v_add_f32_e32 v16, 0, v16
	s_delay_alu instid0(VALU_DEP_1) | instskip(NEXT) | instid1(VALU_DEP_1)
	v_cndmask_b32_e64 v16, 0, v16, s48
	v_add_f32_e32 v18, v16, v18
	s_delay_alu instid0(VALU_DEP_1) | instskip(SKIP_2) | instid1(VALU_DEP_1)
	v_cndmask_b32_e64 v16, v16, v18, s50
	ds_load_b32 v18, v35
	v_add_f32_e32 v40, v16, v40
	v_cndmask_b32_e64 v16, v16, v40, s49
	s_delay_alu instid0(VALU_DEP_1) | instskip(NEXT) | instid1(VALU_DEP_1)
	v_add_f32_e32 v40, v16, v41
	v_cndmask_b32_e64 v40, v16, v40, s3
	v_ashrrev_i32_e32 v16, 31, v15
	s_wait_dscnt 0x0
	s_delay_alu instid0(VALU_DEP_2) | instskip(NEXT) | instid1(VALU_DEP_2)
	v_add_f32_e32 v18, v40, v18
	v_cmp_le_i64_e64 s3, s[20:21], v[15:16]
	v_add_nc_u32_e32 v15, s34, v15
	ds_store_b32 v35, v18
	v_add_nc_u32_e32 v35, s36, v35
	s_or_b32 s4, s3, s4
	s_wait_alu 0xfffe
	s_and_not1_b32 exec_lo, exec_lo, s4
	s_cbranch_execz .LBB25_48
.LBB25_40:                              ;   Parent Loop BB25_13 Depth=1
                                        ;     Parent Loop BB25_19 Depth=2
                                        ; =>    This Inner Loop Header: Depth=3
	v_ashrrev_i32_e32 v18, 31, v17
	s_mov_b32 s48, 0
	s_delay_alu instid0(VALU_DEP_1) | instskip(NEXT) | instid1(VALU_DEP_1)
	v_lshlrev_b64_e32 v[40:41], 3, v[17:18]
	v_add_co_u32 v16, s3, s26, v40
	s_wait_alu 0xf1ff
	s_delay_alu instid0(VALU_DEP_2) | instskip(NEXT) | instid1(VALU_DEP_2)
	v_add_co_ci_u32_e64 v18, null, s27, v41, s3
	v_add_co_u32 v40, s3, v16, v6
	s_wait_alu 0xf1ff
	s_delay_alu instid0(VALU_DEP_2)
	v_add_co_ci_u32_e64 v41, null, v18, v7, s3
	s_and_saveexec_b32 s49, s44
	s_cbranch_execz .LBB25_42
; %bb.41:                               ;   in Loop: Header=BB25_40 Depth=3
	v_add_nc_u32_e32 v42, v37, v17
	v_add_co_u32 v44, s3, v40, v11
	s_wait_alu 0xf1ff
	v_add_co_ci_u32_e64 v45, null, v41, v12, s3
	s_delay_alu instid0(VALU_DEP_3) | instskip(SKIP_2) | instid1(VALU_DEP_1)
	v_ashrrev_i32_e32 v43, 31, v42
	global_load_b32 v44, v[44:45], off
	v_lshlrev_b64_e32 v[42:43], 1, v[42:43]
	v_add_co_u32 v42, s3, s24, v42
	s_wait_alu 0xf1ff
	s_delay_alu instid0(VALU_DEP_2)
	v_add_co_ci_u32_e64 v43, null, s25, v43, s3
	global_load_u16 v27, v[42:43], off
	s_wait_loadcnt 0x1
	v_cmp_eq_u32_e64 s3, v10, v44
	s_and_b32 s48, s3, exec_lo
.LBB25_42:                              ;   in Loop: Header=BB25_40 Depth=3
	s_wait_alu 0xfffe
	s_or_b32 exec_lo, exec_lo, s49
	s_mov_b32 s49, 0
	s_mov_b32 s50, 0
	s_and_saveexec_b32 s51, s45
	s_cbranch_execz .LBB25_44
; %bb.43:                               ;   in Loop: Header=BB25_40 Depth=3
	v_add_nc_u32_e32 v42, v39, v17
	v_add_co_u32 v40, s3, v40, v13
	s_wait_alu 0xf1ff
	v_add_co_ci_u32_e64 v41, null, v41, v14, s3
	s_delay_alu instid0(VALU_DEP_3) | instskip(SKIP_2) | instid1(VALU_DEP_1)
	v_ashrrev_i32_e32 v43, 31, v42
	global_load_b32 v44, v[40:41], off
	v_lshlrev_b64_e32 v[42:43], 1, v[42:43]
	v_add_co_u32 v40, s3, s24, v42
	s_wait_alu 0xf1ff
	s_delay_alu instid0(VALU_DEP_2)
	v_add_co_ci_u32_e64 v41, null, s25, v43, s3
	global_load_u16 v26, v[40:41], off
	s_wait_loadcnt 0x1
	v_cmp_eq_u32_e64 s3, v10, v44
	s_and_b32 s50, s3, exec_lo
.LBB25_44:                              ;   in Loop: Header=BB25_40 Depth=3
	s_wait_alu 0xfffe
	s_or_b32 exec_lo, exec_lo, s51
	v_add_co_u32 v16, s3, v16, v8
	s_wait_alu 0xf1ff
	v_add_co_ci_u32_e64 v18, null, v18, v9, s3
	s_and_saveexec_b32 s51, s46
	s_cbranch_execz .LBB25_46
; %bb.45:                               ;   in Loop: Header=BB25_40 Depth=3
	v_add_nc_u32_e32 v40, v36, v17
	v_add_co_u32 v42, s3, v16, v11
	s_wait_alu 0xf1ff
	v_add_co_ci_u32_e64 v43, null, v18, v12, s3
	s_delay_alu instid0(VALU_DEP_3) | instskip(SKIP_2) | instid1(VALU_DEP_1)
	v_ashrrev_i32_e32 v41, 31, v40
	global_load_b32 v42, v[42:43], off
	v_lshlrev_b64_e32 v[40:41], 1, v[40:41]
	v_add_co_u32 v40, s3, s24, v40
	s_wait_alu 0xf1ff
	s_delay_alu instid0(VALU_DEP_2)
	v_add_co_ci_u32_e64 v41, null, s25, v41, s3
	global_load_u16 v25, v[40:41], off
	s_wait_loadcnt 0x1
	v_cmp_eq_u32_e64 s3, v10, v42
	s_and_b32 s49, s3, exec_lo
.LBB25_46:                              ;   in Loop: Header=BB25_40 Depth=3
	s_wait_alu 0xfffe
	s_or_b32 exec_lo, exec_lo, s51
	s_mov_b32 s3, 0
	s_and_saveexec_b32 s51, s47
	s_cbranch_execz .LBB25_39
; %bb.47:                               ;   in Loop: Header=BB25_40 Depth=3
	v_add_nc_u32_e32 v40, v38, v17
	v_add_co_u32 v42, s3, v16, v13
	s_wait_alu 0xf1fe
	v_add_co_ci_u32_e64 v43, null, v18, v14, s3
	s_delay_alu instid0(VALU_DEP_3) | instskip(SKIP_2) | instid1(VALU_DEP_1)
	v_ashrrev_i32_e32 v41, 31, v40
	global_load_b32 v16, v[42:43], off
	v_lshlrev_b64_e32 v[40:41], 1, v[40:41]
	v_add_co_u32 v40, s3, s24, v40
	s_wait_alu 0xf1ff
	s_delay_alu instid0(VALU_DEP_2)
	v_add_co_ci_u32_e64 v41, null, s25, v41, s3
	global_load_u16 v24, v[40:41], off
	s_wait_loadcnt 0x1
	v_cmp_eq_u32_e64 s3, v10, v16
	s_and_b32 s3, s3, exec_lo
	s_branch .LBB25_39
.LBB25_48:                              ;   in Loop: Header=BB25_19 Depth=2
	s_or_b32 exec_lo, exec_lo, s4
.LBB25_49:                              ;   in Loop: Header=BB25_19 Depth=2
	s_delay_alu instid0(SALU_CYCLE_1) | instskip(NEXT) | instid1(SALU_CYCLE_1)
	s_or_b32 exec_lo, exec_lo, s43
	s_or_b32 exec_lo, exec_lo, s42
	s_and_saveexec_b32 s42, s0
	s_cbranch_execz .LBB25_52
.LBB25_50:                              ;   in Loop: Header=BB25_19 Depth=2
	v_ashrrev_i32_e32 v12, 31, v10
	v_mul_lo_u32 v13, s21, v10
	v_mad_co_u64_u32 v[10:11], null, s20, v10, 0
	v_mov_b32_e32 v14, v22
	s_delay_alu instid0(VALU_DEP_4) | instskip(SKIP_1) | instid1(VALU_DEP_1)
	v_mul_lo_u32 v12, s20, v12
	s_mov_b32 s43, 0
	v_add3_u32 v11, v11, v12, v13
	s_delay_alu instid0(VALU_DEP_1) | instskip(SKIP_1) | instid1(VALU_DEP_2)
	v_lshlrev_b64_e32 v[11:12], 1, v[10:11]
	v_mov_b32_e32 v10, v4
	v_add_co_u32 v15, s3, s22, v11
	s_wait_alu 0xf1ff
	s_delay_alu instid0(VALU_DEP_3)
	v_add_co_ci_u32_e64 v16, null, s23, v12, s3
	v_dual_mov_b32 v13, v3 :: v_dual_mov_b32 v12, v2
.LBB25_51:                              ;   Parent Loop BB25_13 Depth=1
                                        ;     Parent Loop BB25_19 Depth=2
                                        ; =>    This Inner Loop Header: Depth=3
	ds_load_b32 v35, v14
	v_lshlrev_b64_e32 v[17:18], 1, v[12:13]
	v_ashrrev_i32_e32 v11, 31, v10
	ds_store_b32 v14, v23
	v_dual_mov_b32 v13, v11 :: v_dual_add_nc_u32 v14, s36, v14
	v_add_co_u32 v17, s4, v15, v17
	v_mov_b32_e32 v12, v10
	v_cmp_le_i64_e64 s3, s[20:21], v[10:11]
	s_wait_alu 0xf1ff
	v_add_co_ci_u32_e64 v18, null, v16, v18, s4
	v_add_nc_u32_e32 v10, s34, v10
	s_delay_alu instid0(VALU_DEP_3) | instskip(SKIP_3) | instid1(VALU_DEP_2)
	s_or_b32 s43, s3, s43
	s_wait_dscnt 0x1
	v_bfe_u32 v36, v35, 16, 1
	v_cmp_o_f32_e64 s4, v35, v35
	v_add3_u32 v36, v35, v36, 0x7fff
	s_delay_alu instid0(VALU_DEP_1) | instskip(SKIP_1) | instid1(VALU_DEP_1)
	v_lshrrev_b32_e32 v11, 16, v36
	s_wait_alu 0xf1ff
	v_cndmask_b32_e64 v11, 0x7fc0, v11, s4
	global_store_b16 v[17:18], v11, off
	s_and_not1_b32 exec_lo, exec_lo, s43
	s_cbranch_execnz .LBB25_51
.LBB25_52:                              ;   in Loop: Header=BB25_19 Depth=2
	s_or_b32 exec_lo, exec_lo, s42
                                        ; implicit-def: $vgpr17
                                        ; implicit-def: $vgpr10
.LBB25_53:                              ;   in Loop: Header=BB25_19 Depth=2
	s_and_not1_saveexec_b32 s4, s41
	s_cbranch_execz .LBB25_18
; %bb.54:                               ;   in Loop: Header=BB25_19 Depth=2
	s_and_saveexec_b32 s41, s0
	s_cbranch_execz .LBB25_17
; %bb.55:                               ;   in Loop: Header=BB25_19 Depth=2
	v_ashrrev_i32_e32 v11, 31, v10
	v_mul_lo_u32 v13, v17, s8
	v_mul_lo_u32 v12, s21, v10
	v_mad_co_u64_u32 v[15:16], null, s20, v10, 0
	s_delay_alu instid0(VALU_DEP_4) | instskip(SKIP_1) | instid1(VALU_DEP_4)
	v_mul_lo_u32 v17, s20, v11
	s_mov_b32 s42, 0
	v_ashrrev_i32_e32 v14, 31, v13
	v_add_nc_u32_e32 v18, v13, v5
	s_delay_alu instid0(VALU_DEP_3) | instskip(NEXT) | instid1(VALU_DEP_3)
	v_add3_u32 v16, v16, v17, v12
	v_lshlrev_b64_e32 v[35:36], 3, v[13:14]
	v_mov_b32_e32 v12, v4
	v_mov_b32_e32 v14, v21
	s_delay_alu instid0(VALU_DEP_4) | instskip(NEXT) | instid1(VALU_DEP_4)
	v_lshlrev_b64_e32 v[15:16], 1, v[15:16]
	v_add_co_u32 v35, s3, v32, v35
	s_wait_alu 0xf1ff
	v_add_co_ci_u32_e64 v36, null, v33, v36, s3
	s_delay_alu instid0(VALU_DEP_3)
	v_add_co_u32 v37, s3, s22, v15
	s_wait_alu 0xf1ff
	v_add_co_ci_u32_e64 v38, null, s23, v16, s3
	v_dual_mov_b32 v17, v3 :: v_dual_mov_b32 v16, v2
	s_branch .LBB25_57
.LBB25_56:                              ;   in Loop: Header=BB25_57 Depth=3
	s_or_b32 exec_lo, exec_lo, s43
	v_ashrrev_i32_e32 v13, 31, v12
	v_add_nc_u32_e32 v14, s6, v14
	s_delay_alu instid0(VALU_DEP_2) | instskip(SKIP_3) | instid1(SALU_CYCLE_1)
	v_cmp_le_i64_e64 s3, s[20:21], v[12:13]
	v_dual_mov_b32 v17, v13 :: v_dual_mov_b32 v16, v12
	v_add_nc_u32_e32 v12, s34, v12
	s_or_b32 s42, s3, s42
	s_and_not1_b32 exec_lo, exec_lo, s42
	s_cbranch_execz .LBB25_17
.LBB25_57:                              ;   Parent Loop BB25_13 Depth=1
                                        ;     Parent Loop BB25_19 Depth=2
                                        ; =>    This Inner Loop Header: Depth=3
	v_ashrrev_i32_e32 v15, 31, v14
	s_mov_b32 s43, exec_lo
	s_delay_alu instid0(VALU_DEP_1) | instskip(NEXT) | instid1(VALU_DEP_1)
	v_lshlrev_b64_e32 v[39:40], 3, v[14:15]
	v_add_co_u32 v39, s3, v35, v39
	s_wait_alu 0xf1ff
	s_delay_alu instid0(VALU_DEP_2)
	v_add_co_ci_u32_e64 v40, null, v36, v40, s3
	global_load_b64 v[39:40], v[39:40], off
	s_wait_loadcnt 0x0
	v_cmpx_eq_u64_e64 v[39:40], v[10:11]
	s_cbranch_execz .LBB25_56
; %bb.58:                               ;   in Loop: Header=BB25_57 Depth=3
	v_add_nc_u32_e32 v39, v18, v14
	v_lshlrev_b64_e32 v[15:16], 1, v[16:17]
	s_delay_alu instid0(VALU_DEP_2) | instskip(NEXT) | instid1(VALU_DEP_1)
	v_ashrrev_i32_e32 v40, 31, v39
	v_lshlrev_b64_e32 v[39:40], 1, v[39:40]
	s_delay_alu instid0(VALU_DEP_1) | instskip(SKIP_1) | instid1(VALU_DEP_2)
	v_add_co_u32 v39, s3, s24, v39
	s_wait_alu 0xf1ff
	v_add_co_ci_u32_e64 v40, null, s25, v40, s3
	v_add_co_u32 v15, s3, v37, v15
	s_wait_alu 0xf1ff
	v_add_co_ci_u32_e64 v16, null, v38, v16, s3
	global_load_u16 v13, v[39:40], off
	s_wait_loadcnt 0x0
	global_store_b16 v[15:16], v13, off
	s_branch .LBB25_56
.LBB25_59:
	s_endpgm
.LBB25_60:
                                        ; implicit-def: $sgpr26_sgpr27
	s_branch .LBB25_5
.LBB25_61:
                                        ; implicit-def: $sgpr34_sgpr35
	s_branch .LBB25_8
	.section	.rodata,"a",@progbits
	.p2align	6, 0x0
	.amdhsa_kernel _ZN2at6native12_GLOBAL__N_122max_pool_backward_nhwcIN3c108BFloat16EfEEvPKT_PKlillliiiiiiiiiiiiiiiPS5_
		.amdhsa_group_segment_fixed_size 0
		.amdhsa_private_segment_fixed_size 0
		.amdhsa_kernarg_size 376
		.amdhsa_user_sgpr_count 2
		.amdhsa_user_sgpr_dispatch_ptr 0
		.amdhsa_user_sgpr_queue_ptr 0
		.amdhsa_user_sgpr_kernarg_segment_ptr 1
		.amdhsa_user_sgpr_dispatch_id 0
		.amdhsa_user_sgpr_private_segment_size 0
		.amdhsa_wavefront_size32 1
		.amdhsa_uses_dynamic_stack 0
		.amdhsa_enable_private_segment 0
		.amdhsa_system_sgpr_workgroup_id_x 1
		.amdhsa_system_sgpr_workgroup_id_y 1
		.amdhsa_system_sgpr_workgroup_id_z 1
		.amdhsa_system_sgpr_workgroup_info 0
		.amdhsa_system_vgpr_workitem_id 2
		.amdhsa_next_free_vgpr 46
		.amdhsa_next_free_sgpr 52
		.amdhsa_reserve_vcc 1
		.amdhsa_float_round_mode_32 0
		.amdhsa_float_round_mode_16_64 0
		.amdhsa_float_denorm_mode_32 3
		.amdhsa_float_denorm_mode_16_64 3
		.amdhsa_fp16_overflow 0
		.amdhsa_workgroup_processor_mode 1
		.amdhsa_memory_ordered 1
		.amdhsa_forward_progress 1
		.amdhsa_inst_pref_size 41
		.amdhsa_round_robin_scheduling 0
		.amdhsa_exception_fp_ieee_invalid_op 0
		.amdhsa_exception_fp_denorm_src 0
		.amdhsa_exception_fp_ieee_div_zero 0
		.amdhsa_exception_fp_ieee_overflow 0
		.amdhsa_exception_fp_ieee_underflow 0
		.amdhsa_exception_fp_ieee_inexact 0
		.amdhsa_exception_int_div_zero 0
	.end_amdhsa_kernel
	.section	.text._ZN2at6native12_GLOBAL__N_122max_pool_backward_nhwcIN3c108BFloat16EfEEvPKT_PKlillliiiiiiiiiiiiiiiPS5_,"axG",@progbits,_ZN2at6native12_GLOBAL__N_122max_pool_backward_nhwcIN3c108BFloat16EfEEvPKT_PKlillliiiiiiiiiiiiiiiPS5_,comdat
.Lfunc_end25:
	.size	_ZN2at6native12_GLOBAL__N_122max_pool_backward_nhwcIN3c108BFloat16EfEEvPKT_PKlillliiiiiiiiiiiiiiiPS5_, .Lfunc_end25-_ZN2at6native12_GLOBAL__N_122max_pool_backward_nhwcIN3c108BFloat16EfEEvPKT_PKlillliiiiiiiiiiiiiiiPS5_
                                        ; -- End function
	.set _ZN2at6native12_GLOBAL__N_122max_pool_backward_nhwcIN3c108BFloat16EfEEvPKT_PKlillliiiiiiiiiiiiiiiPS5_.num_vgpr, 46
	.set _ZN2at6native12_GLOBAL__N_122max_pool_backward_nhwcIN3c108BFloat16EfEEvPKT_PKlillliiiiiiiiiiiiiiiPS5_.num_agpr, 0
	.set _ZN2at6native12_GLOBAL__N_122max_pool_backward_nhwcIN3c108BFloat16EfEEvPKT_PKlillliiiiiiiiiiiiiiiPS5_.numbered_sgpr, 52
	.set _ZN2at6native12_GLOBAL__N_122max_pool_backward_nhwcIN3c108BFloat16EfEEvPKT_PKlillliiiiiiiiiiiiiiiPS5_.num_named_barrier, 0
	.set _ZN2at6native12_GLOBAL__N_122max_pool_backward_nhwcIN3c108BFloat16EfEEvPKT_PKlillliiiiiiiiiiiiiiiPS5_.private_seg_size, 0
	.set _ZN2at6native12_GLOBAL__N_122max_pool_backward_nhwcIN3c108BFloat16EfEEvPKT_PKlillliiiiiiiiiiiiiiiPS5_.uses_vcc, 1
	.set _ZN2at6native12_GLOBAL__N_122max_pool_backward_nhwcIN3c108BFloat16EfEEvPKT_PKlillliiiiiiiiiiiiiiiPS5_.uses_flat_scratch, 0
	.set _ZN2at6native12_GLOBAL__N_122max_pool_backward_nhwcIN3c108BFloat16EfEEvPKT_PKlillliiiiiiiiiiiiiiiPS5_.has_dyn_sized_stack, 0
	.set _ZN2at6native12_GLOBAL__N_122max_pool_backward_nhwcIN3c108BFloat16EfEEvPKT_PKlillliiiiiiiiiiiiiiiPS5_.has_recursion, 0
	.set _ZN2at6native12_GLOBAL__N_122max_pool_backward_nhwcIN3c108BFloat16EfEEvPKT_PKlillliiiiiiiiiiiiiiiPS5_.has_indirect_call, 0
	.section	.AMDGPU.csdata,"",@progbits
; Kernel info:
; codeLenInByte = 5240
; TotalNumSgprs: 54
; NumVgprs: 46
; ScratchSize: 0
; MemoryBound: 0
; FloatMode: 240
; IeeeMode: 1
; LDSByteSize: 0 bytes/workgroup (compile time only)
; SGPRBlocks: 0
; VGPRBlocks: 5
; NumSGPRsForWavesPerEU: 54
; NumVGPRsForWavesPerEU: 46
; Occupancy: 16
; WaveLimiterHint : 0
; COMPUTE_PGM_RSRC2:SCRATCH_EN: 0
; COMPUTE_PGM_RSRC2:USER_SGPR: 2
; COMPUTE_PGM_RSRC2:TRAP_HANDLER: 0
; COMPUTE_PGM_RSRC2:TGID_X_EN: 1
; COMPUTE_PGM_RSRC2:TGID_Y_EN: 1
; COMPUTE_PGM_RSRC2:TGID_Z_EN: 1
; COMPUTE_PGM_RSRC2:TIDIG_COMP_CNT: 2
	.section	.text._ZN2at6native12_GLOBAL__N_122max_pool_backward_nchwIN3c108BFloat16EfiEEvPKT_PKlT1_SA_SA_SA_SA_SA_iiiiiiiiPS5_,"axG",@progbits,_ZN2at6native12_GLOBAL__N_122max_pool_backward_nchwIN3c108BFloat16EfiEEvPKT_PKlT1_SA_SA_SA_SA_SA_iiiiiiiiPS5_,comdat
	.globl	_ZN2at6native12_GLOBAL__N_122max_pool_backward_nchwIN3c108BFloat16EfiEEvPKT_PKlT1_SA_SA_SA_SA_SA_iiiiiiiiPS5_ ; -- Begin function _ZN2at6native12_GLOBAL__N_122max_pool_backward_nchwIN3c108BFloat16EfiEEvPKT_PKlT1_SA_SA_SA_SA_SA_iiiiiiiiPS5_
	.p2align	8
	.type	_ZN2at6native12_GLOBAL__N_122max_pool_backward_nchwIN3c108BFloat16EfiEEvPKT_PKlT1_SA_SA_SA_SA_SA_iiiiiiiiPS5_,@function
_ZN2at6native12_GLOBAL__N_122max_pool_backward_nchwIN3c108BFloat16EfiEEvPKT_PKlT1_SA_SA_SA_SA_SA_iiiiiiiiPS5_: ; @_ZN2at6native12_GLOBAL__N_122max_pool_backward_nchwIN3c108BFloat16EfiEEvPKT_PKlT1_SA_SA_SA_SA_SA_iiiiiiiiPS5_
; %bb.0:
	s_clause 0x1
	s_load_b32 s2, s[0:1], 0x5c
	s_load_b256 s[4:11], s[0:1], 0x10
	v_mov_b32_e32 v1, 0
	s_wait_kmcnt 0x0
	s_and_b32 s35, s2, 0xffff
	s_mul_i32 s2, s7, s6
	s_delay_alu instid0(VALU_DEP_1)
	v_mad_co_u64_u32 v[0:1], null, s35, ttmp9, v[0:1]
	s_ashr_i32 s3, s2, 31
	s_mov_b32 s6, exec_lo
	v_cmpx_gt_i64_e64 s[2:3], v[0:1]
	s_cbranch_execz .LBB26_23
; %bb.1:
	s_load_b256 s[12:19], s[0:1], 0x30
	s_add_co_i32 s10, s10, -1
	s_add_co_i32 s11, s11, -1
	s_and_b32 s6, ttmp7, 0xffff
	s_wait_kmcnt 0x0
	s_add_nc_u64 s[18:19], s[0:1], 0x50
	s_load_b128 s[20:23], s[0:1], 0x0
	s_load_b32 s36, s[18:19], 0x0
	s_mul_i32 s38, s6, s5
	s_mul_i32 s29, s9, s8
	s_mov_b32 s28, 0
	s_mul_i32 s16, s16, s10
	s_mul_i32 s17, s17, s11
	s_not_b32 s24, s16
	s_not_b32 s25, s17
	s_cmp_lt_i32 s6, s4
	s_load_b64 s[10:11], s[0:1], 0x48
	s_cselect_b32 s26, -1, 0
	s_lshr_b32 s27, ttmp7, 16
	s_wait_kmcnt 0x0
	s_mul_i32 s35, s36, s35
	s_cmp_lt_i32 s27, s5
	s_cselect_b32 s30, -1, 0
	s_abs_i32 s31, s7
	s_abs_i32 s33, s12
	;; [unrolled: 1-line block ×3, first 2 shown]
	s_cvt_f32_u32 s0, s31
	s_cvt_f32_u32 s1, s33
	s_wait_alu 0xfffe
	s_cvt_f32_u32 s37, s34
	s_sub_co_i32 s39, 0, s31
	v_rcp_iflag_f32_e32 v2, s0
	v_rcp_iflag_f32_e32 v3, s1
	;; [unrolled: 1-line block ×3, first 2 shown]
	s_add_co_i32 s0, s27, s38
	s_sub_co_i32 s40, 0, s33
	s_sub_co_i32 s41, 0, s34
	s_ashr_i32 s36, s7, 31
	s_ashr_i32 s12, s12, 31
	;; [unrolled: 1-line block ×3, first 2 shown]
	s_delay_alu instid0(TRANS32_DEP_3) | instskip(NEXT) | instid1(TRANS32_DEP_2)
	v_readfirstlane_b32 s1, v2
	v_readfirstlane_b32 s37, v3
	s_delay_alu instid0(TRANS32_DEP_1)
	v_readfirstlane_b32 s38, v4
	s_mul_f32 s1, s1, 0x4f7ffffe
	s_mul_f32 s37, s37, 0x4f7ffffe
	;; [unrolled: 1-line block ×3, first 2 shown]
	s_wait_alu 0xfffe
	s_cvt_u32_f32 s1, s1
	s_cvt_u32_f32 s42, s37
	;; [unrolled: 1-line block ×3, first 2 shown]
	s_mul_i32 s37, s8, s0
	s_wait_alu 0xfffe
	s_mul_i32 s39, s39, s1
	s_mul_i32 s40, s40, s42
	;; [unrolled: 1-line block ×3, first 2 shown]
	s_mul_hi_u32 s0, s1, s39
	s_mul_hi_u32 s39, s42, s40
	;; [unrolled: 1-line block ×3, first 2 shown]
	s_wait_alu 0xfffe
	s_add_co_i32 s38, s1, s0
	s_add_co_i32 s39, s42, s39
	;; [unrolled: 1-line block ×3, first 2 shown]
	s_mul_i32 s41, s29, s5
	s_branch .LBB26_3
.LBB26_2:                               ;   in Loop: Header=BB26_3 Depth=1
	v_add_co_u32 v0, vcc_lo, v0, s35
	s_wait_alu 0xfffd
	v_add_co_ci_u32_e64 v1, null, 0, v1, vcc_lo
	s_delay_alu instid0(VALU_DEP_1) | instskip(SKIP_1) | instid1(SALU_CYCLE_1)
	v_cmp_le_i64_e32 vcc_lo, s[2:3], v[0:1]
	s_or_b32 s28, vcc_lo, s28
	s_and_not1_b32 exec_lo, exec_lo, s28
	s_cbranch_execz .LBB26_23
.LBB26_3:                               ; =>This Loop Header: Depth=1
                                        ;     Child Loop BB26_10 Depth 2
                                        ;       Child Loop BB26_14 Depth 3
                                        ;         Child Loop BB26_18 Depth 4
                                        ;           Child Loop BB26_21 Depth 5
	v_sub_nc_u32_e32 v2, 0, v0
	v_mov_b32_e32 v6, 0
	s_mov_b32 s0, exec_lo
	s_delay_alu instid0(VALU_DEP_2) | instskip(NEXT) | instid1(VALU_DEP_1)
	v_max_i32_e32 v2, v0, v2
	v_mul_hi_u32 v3, v2, s38
	s_delay_alu instid0(VALU_DEP_1) | instskip(NEXT) | instid1(VALU_DEP_1)
	v_mul_lo_u32 v4, v3, s31
	v_sub_nc_u32_e32 v2, v2, v4
	v_add_nc_u32_e32 v4, 1, v3
	s_delay_alu instid0(VALU_DEP_2) | instskip(SKIP_2) | instid1(VALU_DEP_2)
	v_subrev_nc_u32_e32 v5, s31, v2
	v_cmp_le_u32_e32 vcc_lo, s31, v2
	s_wait_alu 0xfffd
	v_dual_cndmask_b32 v3, v3, v4 :: v_dual_cndmask_b32 v2, v2, v5
	v_ashrrev_i32_e32 v4, 31, v0
	s_delay_alu instid0(VALU_DEP_2) | instskip(NEXT) | instid1(VALU_DEP_3)
	v_add_nc_u32_e32 v5, 1, v3
	v_cmp_le_u32_e32 vcc_lo, s31, v2
	s_delay_alu instid0(VALU_DEP_3) | instskip(SKIP_1) | instid1(VALU_DEP_3)
	v_xor_b32_e32 v4, s36, v4
	s_wait_alu 0xfffd
	v_cndmask_b32_e32 v2, v3, v5, vcc_lo
	s_delay_alu instid0(VALU_DEP_1) | instskip(NEXT) | instid1(VALU_DEP_1)
	v_xor_b32_e32 v2, v2, v4
	v_sub_nc_u32_e32 v4, v2, v4
	s_delay_alu instid0(VALU_DEP_1) | instskip(NEXT) | instid1(VALU_DEP_1)
	v_dual_mov_b32 v2, 0 :: v_dual_add_nc_u32 v3, s14, v4
	v_cmpx_lt_i32_e64 s16, v3
	s_cbranch_execz .LBB26_5
; %bb.4:                                ;   in Loop: Header=BB26_3 Depth=1
	v_add_nc_u32_e32 v5, s24, v3
	s_delay_alu instid0(VALU_DEP_1) | instskip(NEXT) | instid1(VALU_DEP_1)
	v_sub_nc_u32_e32 v6, 0, v5
	v_max_i32_e32 v6, v5, v6
	s_delay_alu instid0(VALU_DEP_1) | instskip(NEXT) | instid1(VALU_DEP_1)
	v_mul_hi_u32 v7, v6, s39
	v_mul_lo_u32 v8, v7, s33
	s_delay_alu instid0(VALU_DEP_1) | instskip(SKIP_1) | instid1(VALU_DEP_2)
	v_sub_nc_u32_e32 v6, v6, v8
	v_add_nc_u32_e32 v8, 1, v7
	v_subrev_nc_u32_e32 v9, s33, v6
	v_cmp_le_u32_e32 vcc_lo, s33, v6
	s_wait_alu 0xfffd
	s_delay_alu instid0(VALU_DEP_2) | instskip(SKIP_1) | instid1(VALU_DEP_2)
	v_dual_cndmask_b32 v7, v7, v8 :: v_dual_cndmask_b32 v6, v6, v9
	v_ashrrev_i32_e32 v5, 31, v5
	v_add_nc_u32_e32 v8, 1, v7
	s_delay_alu instid0(VALU_DEP_3) | instskip(NEXT) | instid1(VALU_DEP_3)
	v_cmp_le_u32_e32 vcc_lo, s33, v6
	v_xor_b32_e32 v5, s12, v5
	s_wait_alu 0xfffd
	s_delay_alu instid0(VALU_DEP_3) | instskip(NEXT) | instid1(VALU_DEP_1)
	v_cndmask_b32_e32 v6, v7, v8, vcc_lo
	v_xor_b32_e32 v6, v6, v5
	s_delay_alu instid0(VALU_DEP_1) | instskip(NEXT) | instid1(VALU_DEP_1)
	v_sub_nc_u32_e32 v5, v6, v5
	v_add_nc_u32_e32 v6, 1, v5
.LBB26_5:                               ;   in Loop: Header=BB26_3 Depth=1
	s_wait_alu 0xfffe
	s_or_b32 exec_lo, exec_lo, s0
	v_mul_lo_u32 v4, v4, s7
	s_mov_b32 s0, exec_lo
	s_delay_alu instid0(VALU_DEP_1) | instskip(NEXT) | instid1(VALU_DEP_1)
	v_sub_nc_u32_e32 v4, v0, v4
	v_add_nc_u32_e32 v4, s15, v4
	s_delay_alu instid0(VALU_DEP_1)
	v_cmpx_lt_i32_e64 s17, v4
	s_cbranch_execz .LBB26_7
; %bb.6:                                ;   in Loop: Header=BB26_3 Depth=1
	v_add_nc_u32_e32 v2, s25, v4
	s_delay_alu instid0(VALU_DEP_1) | instskip(NEXT) | instid1(VALU_DEP_1)
	v_sub_nc_u32_e32 v5, 0, v2
	v_max_i32_e32 v5, v2, v5
	s_delay_alu instid0(VALU_DEP_1) | instskip(NEXT) | instid1(VALU_DEP_1)
	v_mul_hi_u32 v7, v5, s40
	v_mul_lo_u32 v8, v7, s34
	s_delay_alu instid0(VALU_DEP_1) | instskip(SKIP_1) | instid1(VALU_DEP_2)
	v_sub_nc_u32_e32 v5, v5, v8
	v_add_nc_u32_e32 v8, 1, v7
	v_subrev_nc_u32_e32 v9, s34, v5
	v_cmp_le_u32_e32 vcc_lo, s34, v5
	s_wait_alu 0xfffd
	s_delay_alu instid0(VALU_DEP_3) | instskip(NEXT) | instid1(VALU_DEP_3)
	v_cndmask_b32_e32 v7, v7, v8, vcc_lo
	v_cndmask_b32_e32 v5, v5, v9, vcc_lo
	v_ashrrev_i32_e32 v2, 31, v2
	s_delay_alu instid0(VALU_DEP_3) | instskip(NEXT) | instid1(VALU_DEP_3)
	v_add_nc_u32_e32 v8, 1, v7
	v_cmp_le_u32_e32 vcc_lo, s34, v5
	s_delay_alu instid0(VALU_DEP_3) | instskip(SKIP_1) | instid1(VALU_DEP_3)
	v_xor_b32_e32 v2, s13, v2
	s_wait_alu 0xfffd
	v_cndmask_b32_e32 v5, v7, v8, vcc_lo
	s_delay_alu instid0(VALU_DEP_1) | instskip(NEXT) | instid1(VALU_DEP_1)
	v_xor_b32_e32 v5, v5, v2
	v_sub_nc_u32_e32 v2, v5, v2
	s_delay_alu instid0(VALU_DEP_1)
	v_add_nc_u32_e32 v2, 1, v2
.LBB26_7:                               ;   in Loop: Header=BB26_3 Depth=1
	s_wait_alu 0xfffe
	s_or_b32 exec_lo, exec_lo, s0
	s_delay_alu instid0(SALU_CYCLE_1)
	s_and_not1_b32 vcc_lo, exec_lo, s26
	s_wait_alu 0xfffe
	s_cbranch_vccnz .LBB26_2
; %bb.8:                                ;   in Loop: Header=BB26_3 Depth=1
	v_sub_nc_u32_e32 v5, 0, v4
	v_sub_nc_u32_e32 v7, 0, v3
	s_load_b32 s42, s[18:19], 0x4
	s_mov_b32 s44, s6
	s_delay_alu instid0(VALU_DEP_2) | instskip(NEXT) | instid1(VALU_DEP_2)
	v_max_i32_e32 v5, v4, v5
	v_max_i32_e32 v7, v3, v7
	v_ashrrev_i32_e32 v4, 31, v4
	v_ashrrev_i32_e32 v3, 31, v3
	s_delay_alu instid0(VALU_DEP_4) | instskip(NEXT) | instid1(VALU_DEP_4)
	v_mul_hi_u32 v8, v5, s40
	v_mul_hi_u32 v9, v7, s39
	s_delay_alu instid0(VALU_DEP_4) | instskip(NEXT) | instid1(VALU_DEP_4)
	v_xor_b32_e32 v4, s13, v4
	v_xor_b32_e32 v3, s12, v3
	s_delay_alu instid0(VALU_DEP_4) | instskip(NEXT) | instid1(VALU_DEP_4)
	v_mul_lo_u32 v10, v8, s34
	v_mul_lo_u32 v11, v9, s33
	s_wait_kmcnt 0x0
	s_mul_i32 s43, s41, s42
	s_delay_alu instid0(VALU_DEP_2) | instskip(NEXT) | instid1(VALU_DEP_2)
	v_sub_nc_u32_e32 v5, v5, v10
	v_sub_nc_u32_e32 v7, v7, v11
	v_add_nc_u32_e32 v11, 1, v8
	s_delay_alu instid0(VALU_DEP_3) | instskip(NEXT) | instid1(VALU_DEP_3)
	v_cmp_le_u32_e64 s0, s34, v5
	v_subrev_nc_u32_e32 v13, s33, v7
	v_cmp_le_u32_e32 vcc_lo, s33, v7
	v_subrev_nc_u32_e32 v12, s34, v5
	s_wait_alu 0xf1ff
	v_cndmask_b32_e64 v8, v8, v11, s0
	s_wait_alu 0xfffd
	v_cndmask_b32_e32 v7, v7, v13, vcc_lo
	v_cndmask_b32_e64 v5, v5, v12, s0
	s_delay_alu instid0(VALU_DEP_3) | instskip(SKIP_1) | instid1(VALU_DEP_1)
	v_add_nc_u32_e32 v11, 1, v8
	v_add_nc_u32_e32 v10, 1, v9
	v_cndmask_b32_e32 v9, v9, v10, vcc_lo
	v_cmp_le_u32_e32 vcc_lo, s33, v7
	s_delay_alu instid0(VALU_DEP_2) | instskip(SKIP_1) | instid1(VALU_DEP_1)
	v_add_nc_u32_e32 v10, 1, v9
	s_wait_alu 0xfffd
	v_cndmask_b32_e32 v7, v9, v10, vcc_lo
	v_cmp_le_u32_e32 vcc_lo, s34, v5
	s_delay_alu instid0(VALU_DEP_2) | instskip(SKIP_2) | instid1(VALU_DEP_2)
	v_xor_b32_e32 v7, v7, v3
	s_wait_alu 0xfffd
	v_cndmask_b32_e32 v5, v8, v11, vcc_lo
	v_sub_nc_u32_e32 v3, v7, v3
	s_delay_alu instid0(VALU_DEP_2) | instskip(NEXT) | instid1(VALU_DEP_2)
	v_xor_b32_e32 v5, v5, v4
	v_add_nc_u32_e32 v3, 1, v3
	s_delay_alu instid0(VALU_DEP_2) | instskip(SKIP_1) | instid1(VALU_DEP_3)
	v_sub_nc_u32_e32 v4, v5, v4
	v_add_nc_u32_e32 v5, s37, v6
	v_min_i32_e32 v7, s8, v3
	s_delay_alu instid0(VALU_DEP_3) | instskip(NEXT) | instid1(VALU_DEP_2)
	v_add_nc_u32_e32 v4, 1, v4
	v_cmp_lt_i32_e64 s0, v6, v7
	s_delay_alu instid0(VALU_DEP_2) | instskip(SKIP_1) | instid1(VALU_DEP_2)
	v_min_i32_e32 v8, s9, v4
	v_mad_co_u64_u32 v[3:4], null, s9, v5, v[2:3]
	v_cmp_lt_i32_e64 s1, v2, v8
	s_branch .LBB26_10
.LBB26_9:                               ;   in Loop: Header=BB26_10 Depth=2
	s_delay_alu instid0(VALU_DEP_1) | instskip(SKIP_1) | instid1(SALU_CYCLE_1)
	v_add_nc_u32_e32 v3, s43, v3
	s_add_co_i32 s44, s42, s44
	s_cmp_ge_i32 s44, s4
	s_cbranch_scc1 .LBB26_2
.LBB26_10:                              ;   Parent Loop BB26_3 Depth=1
                                        ; =>  This Loop Header: Depth=2
                                        ;       Child Loop BB26_14 Depth 3
                                        ;         Child Loop BB26_18 Depth 4
                                        ;           Child Loop BB26_21 Depth 5
	s_and_not1_b32 vcc_lo, exec_lo, s30
	s_wait_alu 0xfffe
	s_cbranch_vccnz .LBB26_9
; %bb.11:                               ;   in Loop: Header=BB26_10 Depth=2
	s_load_b32 s45, s[18:19], 0x8
	s_delay_alu instid0(VALU_DEP_1)
	v_mov_b32_e32 v9, v3
	s_mul_i32 s46, s44, s5
	s_mov_b32 s48, s27
	s_wait_kmcnt 0x0
	s_mul_i32 s47, s29, s45
	s_branch .LBB26_14
.LBB26_12:                              ;   in Loop: Header=BB26_14 Depth=3
	s_or_b32 exec_lo, exec_lo, s50
.LBB26_13:                              ;   in Loop: Header=BB26_14 Depth=3
	s_wait_alu 0xfffe
	s_or_b32 exec_lo, exec_lo, s49
	s_add_co_i32 s49, s48, s46
	v_cmp_o_f32_e32 vcc_lo, v10, v10
	s_wait_alu 0xfffe
	v_mad_co_u64_u32 v[4:5], null, s2, s49, v[0:1]
	v_bfe_u32 v5, v10, 16, 1
	v_add_nc_u32_e32 v9, s47, v9
	s_add_co_i32 s48, s45, s48
	s_wait_alu 0xfffe
	s_cmp_ge_i32 s48, s5
	v_add3_u32 v11, v10, v5, 0x7fff
	s_delay_alu instid0(VALU_DEP_4) | instskip(NEXT) | instid1(VALU_DEP_2)
	v_ashrrev_i32_e32 v5, 31, v4
	v_lshrrev_b32_e32 v11, 16, v11
	s_delay_alu instid0(VALU_DEP_2) | instskip(SKIP_1) | instid1(VALU_DEP_2)
	v_lshlrev_b64_e32 v[4:5], 1, v[4:5]
	s_wait_alu 0xfffd
	v_cndmask_b32_e32 v10, 0x7fc0, v11, vcc_lo
	s_delay_alu instid0(VALU_DEP_2) | instskip(SKIP_1) | instid1(VALU_DEP_3)
	v_add_co_u32 v4, vcc_lo, s10, v4
	s_wait_alu 0xfffd
	v_add_co_ci_u32_e64 v5, null, s11, v5, vcc_lo
	global_store_b16 v[4:5], v10, off
	s_cbranch_scc1 .LBB26_9
.LBB26_14:                              ;   Parent Loop BB26_3 Depth=1
                                        ;     Parent Loop BB26_10 Depth=2
                                        ; =>    This Loop Header: Depth=3
                                        ;         Child Loop BB26_18 Depth 4
                                        ;           Child Loop BB26_21 Depth 5
	v_mov_b32_e32 v10, 0
	s_and_saveexec_b32 s49, s0
	s_cbranch_execz .LBB26_13
; %bb.15:                               ;   in Loop: Header=BB26_14 Depth=3
	v_dual_mov_b32 v10, 0 :: v_dual_mov_b32 v11, v9
	v_mov_b32_e32 v12, v6
	s_mov_b32 s50, 0
	s_branch .LBB26_18
.LBB26_16:                              ;   in Loop: Header=BB26_18 Depth=4
	s_or_b32 exec_lo, exec_lo, s52
.LBB26_17:                              ;   in Loop: Header=BB26_18 Depth=4
	s_delay_alu instid0(SALU_CYCLE_1) | instskip(SKIP_2) | instid1(VALU_DEP_2)
	s_or_b32 exec_lo, exec_lo, s51
	v_add_nc_u32_e32 v12, 1, v12
	v_add_nc_u32_e32 v11, s9, v11
	v_cmp_ge_i32_e32 vcc_lo, v12, v7
	s_or_b32 s50, vcc_lo, s50
	s_delay_alu instid0(SALU_CYCLE_1)
	s_and_not1_b32 exec_lo, exec_lo, s50
	s_cbranch_execz .LBB26_12
.LBB26_18:                              ;   Parent Loop BB26_3 Depth=1
                                        ;     Parent Loop BB26_10 Depth=2
                                        ;       Parent Loop BB26_14 Depth=3
                                        ; =>      This Loop Header: Depth=4
                                        ;           Child Loop BB26_21 Depth 5
	s_and_saveexec_b32 s51, s1
	s_cbranch_execz .LBB26_17
; %bb.19:                               ;   in Loop: Header=BB26_18 Depth=4
	v_dual_mov_b32 v4, v11 :: v_dual_mov_b32 v13, v2
	s_mov_b32 s52, 0
	s_branch .LBB26_21
.LBB26_20:                              ;   in Loop: Header=BB26_21 Depth=5
	s_or_b32 exec_lo, exec_lo, s53
	v_add_nc_u32_e32 v13, 1, v13
	v_add_nc_u32_e32 v4, 1, v4
	s_delay_alu instid0(VALU_DEP_2) | instskip(SKIP_1) | instid1(SALU_CYCLE_1)
	v_cmp_ge_i32_e32 vcc_lo, v13, v8
	s_or_b32 s52, vcc_lo, s52
	s_and_not1_b32 exec_lo, exec_lo, s52
	s_cbranch_execz .LBB26_16
.LBB26_21:                              ;   Parent Loop BB26_3 Depth=1
                                        ;     Parent Loop BB26_10 Depth=2
                                        ;       Parent Loop BB26_14 Depth=3
                                        ;         Parent Loop BB26_18 Depth=4
                                        ; =>        This Inner Loop Header: Depth=5
	s_delay_alu instid0(VALU_DEP_1) | instskip(SKIP_1) | instid1(VALU_DEP_1)
	v_ashrrev_i32_e32 v5, 31, v4
	s_mov_b32 s53, exec_lo
	v_lshlrev_b64_e32 v[14:15], 3, v[4:5]
	s_delay_alu instid0(VALU_DEP_1) | instskip(SKIP_1) | instid1(VALU_DEP_2)
	v_add_co_u32 v14, vcc_lo, s22, v14
	s_wait_alu 0xfffd
	v_add_co_ci_u32_e64 v15, null, s23, v15, vcc_lo
	global_load_b64 v[14:15], v[14:15], off
	s_wait_loadcnt 0x0
	v_cmpx_eq_u64_e64 v[14:15], v[0:1]
	s_cbranch_execz .LBB26_20
; %bb.22:                               ;   in Loop: Header=BB26_21 Depth=5
	v_lshlrev_b64_e32 v[14:15], 1, v[4:5]
	s_delay_alu instid0(VALU_DEP_1) | instskip(SKIP_1) | instid1(VALU_DEP_2)
	v_add_co_u32 v14, vcc_lo, s20, v14
	s_wait_alu 0xfffd
	v_add_co_ci_u32_e64 v15, null, s21, v15, vcc_lo
	global_load_u16 v5, v[14:15], off
	s_wait_loadcnt 0x0
	v_lshlrev_b32_e32 v5, 16, v5
	s_delay_alu instid0(VALU_DEP_1)
	v_add_f32_e32 v10, v10, v5
	s_branch .LBB26_20
.LBB26_23:
	s_endpgm
	.section	.rodata,"a",@progbits
	.p2align	6, 0x0
	.amdhsa_kernel _ZN2at6native12_GLOBAL__N_122max_pool_backward_nchwIN3c108BFloat16EfiEEvPKT_PKlT1_SA_SA_SA_SA_SA_iiiiiiiiPS5_
		.amdhsa_group_segment_fixed_size 0
		.amdhsa_private_segment_fixed_size 0
		.amdhsa_kernarg_size 336
		.amdhsa_user_sgpr_count 2
		.amdhsa_user_sgpr_dispatch_ptr 0
		.amdhsa_user_sgpr_queue_ptr 0
		.amdhsa_user_sgpr_kernarg_segment_ptr 1
		.amdhsa_user_sgpr_dispatch_id 0
		.amdhsa_user_sgpr_private_segment_size 0
		.amdhsa_wavefront_size32 1
		.amdhsa_uses_dynamic_stack 0
		.amdhsa_enable_private_segment 0
		.amdhsa_system_sgpr_workgroup_id_x 1
		.amdhsa_system_sgpr_workgroup_id_y 1
		.amdhsa_system_sgpr_workgroup_id_z 1
		.amdhsa_system_sgpr_workgroup_info 0
		.amdhsa_system_vgpr_workitem_id 0
		.amdhsa_next_free_vgpr 16
		.amdhsa_next_free_sgpr 54
		.amdhsa_reserve_vcc 1
		.amdhsa_float_round_mode_32 0
		.amdhsa_float_round_mode_16_64 0
		.amdhsa_float_denorm_mode_32 3
		.amdhsa_float_denorm_mode_16_64 3
		.amdhsa_fp16_overflow 0
		.amdhsa_workgroup_processor_mode 1
		.amdhsa_memory_ordered 1
		.amdhsa_forward_progress 1
		.amdhsa_inst_pref_size 13
		.amdhsa_round_robin_scheduling 0
		.amdhsa_exception_fp_ieee_invalid_op 0
		.amdhsa_exception_fp_denorm_src 0
		.amdhsa_exception_fp_ieee_div_zero 0
		.amdhsa_exception_fp_ieee_overflow 0
		.amdhsa_exception_fp_ieee_underflow 0
		.amdhsa_exception_fp_ieee_inexact 0
		.amdhsa_exception_int_div_zero 0
	.end_amdhsa_kernel
	.section	.text._ZN2at6native12_GLOBAL__N_122max_pool_backward_nchwIN3c108BFloat16EfiEEvPKT_PKlT1_SA_SA_SA_SA_SA_iiiiiiiiPS5_,"axG",@progbits,_ZN2at6native12_GLOBAL__N_122max_pool_backward_nchwIN3c108BFloat16EfiEEvPKT_PKlT1_SA_SA_SA_SA_SA_iiiiiiiiPS5_,comdat
.Lfunc_end26:
	.size	_ZN2at6native12_GLOBAL__N_122max_pool_backward_nchwIN3c108BFloat16EfiEEvPKT_PKlT1_SA_SA_SA_SA_SA_iiiiiiiiPS5_, .Lfunc_end26-_ZN2at6native12_GLOBAL__N_122max_pool_backward_nchwIN3c108BFloat16EfiEEvPKT_PKlT1_SA_SA_SA_SA_SA_iiiiiiiiPS5_
                                        ; -- End function
	.set _ZN2at6native12_GLOBAL__N_122max_pool_backward_nchwIN3c108BFloat16EfiEEvPKT_PKlT1_SA_SA_SA_SA_SA_iiiiiiiiPS5_.num_vgpr, 16
	.set _ZN2at6native12_GLOBAL__N_122max_pool_backward_nchwIN3c108BFloat16EfiEEvPKT_PKlT1_SA_SA_SA_SA_SA_iiiiiiiiPS5_.num_agpr, 0
	.set _ZN2at6native12_GLOBAL__N_122max_pool_backward_nchwIN3c108BFloat16EfiEEvPKT_PKlT1_SA_SA_SA_SA_SA_iiiiiiiiPS5_.numbered_sgpr, 54
	.set _ZN2at6native12_GLOBAL__N_122max_pool_backward_nchwIN3c108BFloat16EfiEEvPKT_PKlT1_SA_SA_SA_SA_SA_iiiiiiiiPS5_.num_named_barrier, 0
	.set _ZN2at6native12_GLOBAL__N_122max_pool_backward_nchwIN3c108BFloat16EfiEEvPKT_PKlT1_SA_SA_SA_SA_SA_iiiiiiiiPS5_.private_seg_size, 0
	.set _ZN2at6native12_GLOBAL__N_122max_pool_backward_nchwIN3c108BFloat16EfiEEvPKT_PKlT1_SA_SA_SA_SA_SA_iiiiiiiiPS5_.uses_vcc, 1
	.set _ZN2at6native12_GLOBAL__N_122max_pool_backward_nchwIN3c108BFloat16EfiEEvPKT_PKlT1_SA_SA_SA_SA_SA_iiiiiiiiPS5_.uses_flat_scratch, 0
	.set _ZN2at6native12_GLOBAL__N_122max_pool_backward_nchwIN3c108BFloat16EfiEEvPKT_PKlT1_SA_SA_SA_SA_SA_iiiiiiiiPS5_.has_dyn_sized_stack, 0
	.set _ZN2at6native12_GLOBAL__N_122max_pool_backward_nchwIN3c108BFloat16EfiEEvPKT_PKlT1_SA_SA_SA_SA_SA_iiiiiiiiPS5_.has_recursion, 0
	.set _ZN2at6native12_GLOBAL__N_122max_pool_backward_nchwIN3c108BFloat16EfiEEvPKT_PKlT1_SA_SA_SA_SA_SA_iiiiiiiiPS5_.has_indirect_call, 0
	.section	.AMDGPU.csdata,"",@progbits
; Kernel info:
; codeLenInByte = 1636
; TotalNumSgprs: 56
; NumVgprs: 16
; ScratchSize: 0
; MemoryBound: 0
; FloatMode: 240
; IeeeMode: 1
; LDSByteSize: 0 bytes/workgroup (compile time only)
; SGPRBlocks: 0
; VGPRBlocks: 1
; NumSGPRsForWavesPerEU: 56
; NumVGPRsForWavesPerEU: 16
; Occupancy: 16
; WaveLimiterHint : 0
; COMPUTE_PGM_RSRC2:SCRATCH_EN: 0
; COMPUTE_PGM_RSRC2:USER_SGPR: 2
; COMPUTE_PGM_RSRC2:TRAP_HANDLER: 0
; COMPUTE_PGM_RSRC2:TGID_X_EN: 1
; COMPUTE_PGM_RSRC2:TGID_Y_EN: 1
; COMPUTE_PGM_RSRC2:TGID_Z_EN: 1
; COMPUTE_PGM_RSRC2:TIDIG_COMP_CNT: 0
	.section	.text._ZN2at6native12_GLOBAL__N_122max_pool_backward_nchwIN3c108BFloat16EflEEvPKT_PKlT1_SA_SA_SA_SA_SA_iiiiiiiiPS5_,"axG",@progbits,_ZN2at6native12_GLOBAL__N_122max_pool_backward_nchwIN3c108BFloat16EflEEvPKT_PKlT1_SA_SA_SA_SA_SA_iiiiiiiiPS5_,comdat
	.globl	_ZN2at6native12_GLOBAL__N_122max_pool_backward_nchwIN3c108BFloat16EflEEvPKT_PKlT1_SA_SA_SA_SA_SA_iiiiiiiiPS5_ ; -- Begin function _ZN2at6native12_GLOBAL__N_122max_pool_backward_nchwIN3c108BFloat16EflEEvPKT_PKlT1_SA_SA_SA_SA_SA_iiiiiiiiPS5_
	.p2align	8
	.type	_ZN2at6native12_GLOBAL__N_122max_pool_backward_nchwIN3c108BFloat16EflEEvPKT_PKlT1_SA_SA_SA_SA_SA_iiiiiiiiPS5_,@function
_ZN2at6native12_GLOBAL__N_122max_pool_backward_nchwIN3c108BFloat16EflEEvPKT_PKlT1_SA_SA_SA_SA_SA_iiiiiiiiPS5_: ; @_ZN2at6native12_GLOBAL__N_122max_pool_backward_nchwIN3c108BFloat16EflEEvPKT_PKlT1_SA_SA_SA_SA_SA_iiiiiiiiPS5_
; %bb.0:
	s_clause 0x1
	s_load_b32 s2, s[0:1], 0x74
	s_load_b512 s[4:19], s[0:1], 0x0
	v_mov_b32_e32 v2, 0
	s_mov_b32 s3, exec_lo
	s_delay_alu instid0(VALU_DEP_1) | instskip(SKIP_3) | instid1(VALU_DEP_1)
	v_mov_b32_e32 v1, v2
	s_wait_kmcnt 0x0
	s_and_b32 s2, s2, 0xffff
	s_mul_u64 s[12:13], s[14:15], s[12:13]
	v_mad_co_u64_u32 v[0:1], null, s2, ttmp9, v[0:1]
	s_delay_alu instid0(VALU_DEP_1)
	v_cmpx_gt_i64_e64 s[12:13], v[0:1]
	s_cbranch_execz .LBB27_43
; %bb.1:
	s_load_b256 s[20:27], s[0:1], 0x40
	s_add_nc_u64 s[28:29], s[0:1], 0x68
	s_load_b64 s[30:31], s[0:1], 0x60
	s_load_b32 s0, s[28:29], 0x0
	v_cvt_f32_u32_e32 v3, s14
	s_mov_b32 s35, 0
	s_and_b32 s34, ttmp7, 0xffff
	s_lshr_b32 s36, ttmp7, 16
	s_mov_b32 s37, s35
	v_rcp_iflag_f32_e32 v3, v3
	v_cmp_gt_i64_e64 s75, s[8:9], s[34:35]
	v_cmp_gt_i64_e64 s76, s[10:11], s[36:37]
	s_mov_b64 s[38:39], s[34:35]
	s_lshl_b64 s[46:47], s[18:19], 3
	s_lshl_b64 s[52:53], s[18:19], 1
	s_ashr_i32 s54, s15, 31
	s_mov_b32 s78, 0
	s_wait_kmcnt 0x0
	s_mov_b32 s40, s22
	s_add_co_i32 s1, s20, -1
	v_cvt_f32_u32_e32 v4, s40
	s_add_co_i32 s3, s21, -1
	s_wait_alu 0xfffe
	s_mul_i32 s1, s26, s1
	s_mul_i32 s3, s27, s3
	s_ashr_i32 s33, s24, 31
	v_rcp_iflag_f32_e32 v4, v4
	v_mul_f32_e32 v3, 0x4f7ffffe, v3
	s_mov_b32 s72, s24
	s_ashr_i32 s41, s22, 31
	s_wait_alu 0xfffe
	s_add_co_i32 s22, s1, 1
	s_add_co_i32 s24, s3, 1
	s_mul_i32 s77, s0, s2
	s_mul_u64 s[0:1], s[10:11], s[34:35]
	s_mul_u64 s[2:3], s[18:19], s[16:17]
	s_wait_alu 0xfffe
	s_add_nc_u64 s[0:1], s[0:1], s[36:37]
	v_mul_f32_e32 v4, 0x4f7ffffe, v4
	v_cvt_u32_f32_e32 v32, v3
	s_mul_u64 s[48:49], s[2:3], s[10:11]
	s_ashr_i32 s73, s25, 31
	s_mov_b32 s74, s25
	v_cvt_u32_f32_e32 v33, v4
	s_ashr_i32 s21, s23, 31
	s_mov_b32 s20, s23
	s_ashr_i32 s23, s22, 31
	s_ashr_i32 s25, s24, 31
	s_wait_alu 0xfffe
	s_mul_u64 s[26:27], s[16:17], s[0:1]
	s_lshl_b64 s[42:43], s[48:49], 3
	s_lshl_b64 s[44:45], s[2:3], 3
	;; [unrolled: 1-line block ×4, first 2 shown]
	s_branch .LBB27_3
.LBB27_2:                               ;   in Loop: Header=BB27_3 Depth=1
	v_add_co_u32 v0, vcc_lo, v0, s77
	s_wait_alu 0xfffd
	v_add_co_ci_u32_e64 v1, null, 0, v1, vcc_lo
	s_delay_alu instid0(VALU_DEP_1) | instskip(SKIP_1) | instid1(SALU_CYCLE_1)
	v_cmp_le_i64_e32 vcc_lo, s[12:13], v[0:1]
	s_or_b32 s78, vcc_lo, s78
	s_and_not1_b32 exec_lo, exec_lo, s78
	s_cbranch_execz .LBB27_43
.LBB27_3:                               ; =>This Loop Header: Depth=1
                                        ;     Child Loop BB27_30 Depth 2
                                        ;       Child Loop BB27_34 Depth 3
                                        ;         Child Loop BB27_38 Depth 4
                                        ;           Child Loop BB27_41 Depth 5
	v_or_b32_e32 v3, s15, v1
                                        ; implicit-def: $vgpr8_vgpr9
	s_mov_b32 s0, exec_lo
	s_delay_alu instid0(VALU_DEP_1)
	v_cmpx_ne_u64_e32 0, v[2:3]
	s_wait_alu 0xfffe
	s_xor_b32 s1, exec_lo, s0
	s_cbranch_execz .LBB27_5
; %bb.4:                                ;   in Loop: Header=BB27_3 Depth=1
	s_mov_b32 s55, s54
	v_ashrrev_i32_e32 v9, 31, v1
	s_wait_alu 0xfffe
	s_add_nc_u64 s[2:3], s[14:15], s[54:55]
	s_wait_alu 0xfffe
	s_xor_b64 s[2:3], s[2:3], s[54:55]
	v_add_co_u32 v3, vcc_lo, v0, v9
	s_wait_alu 0xfffe
	s_cvt_f32_u32 s0, s2
	s_cvt_f32_u32 s34, s3
	s_sub_nc_u64 s[58:59], 0, s[2:3]
	s_wait_alu 0xfffd
	v_add_co_ci_u32_e64 v4, null, v1, v9, vcc_lo
	s_wait_alu 0xfffe
	s_fmamk_f32 s0, s34, 0x4f800000, s0
	v_xor_b32_e32 v10, v3, v9
	s_delay_alu instid0(VALU_DEP_2) | instskip(SKIP_2) | instid1(TRANS32_DEP_1)
	v_xor_b32_e32 v11, v4, v9
	s_wait_alu 0xfffe
	v_s_rcp_f32 s0, s0
	s_mul_f32 s0, s0, 0x5f7ffffc
	s_wait_alu 0xfffe
	s_delay_alu instid0(SALU_CYCLE_2) | instskip(SKIP_1) | instid1(SALU_CYCLE_2)
	s_mul_f32 s34, s0, 0x2f800000
	s_wait_alu 0xfffe
	s_trunc_f32 s34, s34
	s_wait_alu 0xfffe
	s_delay_alu instid0(SALU_CYCLE_2) | instskip(SKIP_2) | instid1(SALU_CYCLE_1)
	s_fmamk_f32 s0, s34, 0xcf800000, s0
	s_cvt_u32_f32 s57, s34
	s_wait_alu 0xfffe
	s_cvt_u32_f32 s56, s0
	s_wait_alu 0xfffe
	s_delay_alu instid0(SALU_CYCLE_2)
	s_mul_u64 s[60:61], s[58:59], s[56:57]
	s_wait_alu 0xfffe
	s_mul_hi_u32 s63, s56, s61
	s_mul_i32 s62, s56, s61
	s_mul_hi_u32 s34, s56, s60
	s_mul_i32 s55, s57, s60
	s_wait_alu 0xfffe
	s_add_nc_u64 s[62:63], s[34:35], s[62:63]
	s_mul_hi_u32 s0, s57, s60
	s_mul_hi_u32 s64, s57, s61
	s_wait_alu 0xfffe
	s_add_co_u32 s34, s62, s55
	s_add_co_ci_u32 s34, s63, s0
	s_mul_i32 s60, s57, s61
	s_add_co_ci_u32 s61, s64, 0
	s_wait_alu 0xfffe
	s_add_nc_u64 s[60:61], s[34:35], s[60:61]
	s_wait_alu 0xfffe
	s_add_co_u32 s56, s56, s60
	s_cselect_b32 s0, -1, 0
	s_wait_alu 0xfffe
	s_cmp_lg_u32 s0, 0
	s_add_co_ci_u32 s57, s57, s61
	s_wait_alu 0xfffe
	s_mul_u64 s[58:59], s[58:59], s[56:57]
	s_wait_alu 0xfffe
	s_mul_hi_u32 s61, s56, s59
	s_mul_i32 s60, s56, s59
	s_mul_hi_u32 s34, s56, s58
	s_mul_i32 s55, s57, s58
	s_wait_alu 0xfffe
	s_add_nc_u64 s[60:61], s[34:35], s[60:61]
	s_mul_hi_u32 s0, s57, s58
	s_mul_hi_u32 s62, s57, s59
	s_wait_alu 0xfffe
	s_add_co_u32 s34, s60, s55
	s_add_co_ci_u32 s34, s61, s0
	s_mul_i32 s58, s57, s59
	s_add_co_ci_u32 s59, s62, 0
	s_wait_alu 0xfffe
	s_add_nc_u64 s[58:59], s[34:35], s[58:59]
	s_wait_alu 0xfffe
	s_add_co_u32 s0, s56, s58
	s_cselect_b32 s34, -1, 0
	s_wait_alu 0xfffe
	v_mul_hi_u32 v12, v10, s0
	s_cmp_lg_u32 s34, 0
	v_mad_co_u64_u32 v[5:6], null, v11, s0, 0
	s_add_co_ci_u32 s34, s57, s59
	s_wait_alu 0xfffe
	v_mad_co_u64_u32 v[3:4], null, v10, s34, 0
	v_mad_co_u64_u32 v[7:8], null, v11, s34, 0
	s_delay_alu instid0(VALU_DEP_2) | instskip(SKIP_1) | instid1(VALU_DEP_3)
	v_add_co_u32 v3, vcc_lo, v12, v3
	s_wait_alu 0xfffd
	v_add_co_ci_u32_e64 v4, null, 0, v4, vcc_lo
	s_delay_alu instid0(VALU_DEP_2) | instskip(SKIP_1) | instid1(VALU_DEP_2)
	v_add_co_u32 v3, vcc_lo, v3, v5
	s_wait_alu 0xfffd
	v_add_co_ci_u32_e32 v3, vcc_lo, v4, v6, vcc_lo
	s_wait_alu 0xfffd
	v_add_co_ci_u32_e32 v4, vcc_lo, 0, v8, vcc_lo
	s_delay_alu instid0(VALU_DEP_2) | instskip(SKIP_1) | instid1(VALU_DEP_2)
	v_add_co_u32 v5, vcc_lo, v3, v7
	s_wait_alu 0xfffd
	v_add_co_ci_u32_e64 v6, null, 0, v4, vcc_lo
	s_delay_alu instid0(VALU_DEP_2) | instskip(SKIP_1) | instid1(VALU_DEP_3)
	v_mul_lo_u32 v7, s3, v5
	v_mad_co_u64_u32 v[3:4], null, s2, v5, 0
	v_mul_lo_u32 v8, s2, v6
	s_delay_alu instid0(VALU_DEP_2) | instskip(NEXT) | instid1(VALU_DEP_2)
	v_sub_co_u32 v3, vcc_lo, v10, v3
	v_add3_u32 v4, v4, v8, v7
	v_add_co_u32 v8, s0, v5, 2
	s_wait_alu 0xf1ff
	v_add_co_ci_u32_e64 v10, null, 0, v6, s0
	s_delay_alu instid0(VALU_DEP_3) | instskip(SKIP_3) | instid1(VALU_DEP_3)
	v_sub_nc_u32_e32 v7, v11, v4
	v_sub_co_u32 v12, s0, v3, s2
	s_wait_alu 0xfffd
	v_sub_co_ci_u32_e64 v4, null, v11, v4, vcc_lo
	v_subrev_co_ci_u32_e64 v7, null, s3, v7, vcc_lo
	s_delay_alu instid0(VALU_DEP_3) | instskip(SKIP_1) | instid1(VALU_DEP_2)
	v_cmp_le_u32_e32 vcc_lo, s2, v12
	s_wait_alu 0xf1ff
	v_subrev_co_ci_u32_e64 v7, null, 0, v7, s0
	s_wait_alu 0xfffd
	v_cndmask_b32_e64 v11, 0, -1, vcc_lo
	s_delay_alu instid0(VALU_DEP_2)
	v_cmp_le_u32_e32 vcc_lo, s3, v7
	s_wait_alu 0xfffd
	v_cndmask_b32_e64 v12, 0, -1, vcc_lo
	v_cmp_le_u32_e32 vcc_lo, s2, v3
	s_wait_alu 0xfffd
	v_cndmask_b32_e64 v3, 0, -1, vcc_lo
	;; [unrolled: 3-line block ×3, first 2 shown]
	v_cmp_eq_u32_e32 vcc_lo, s3, v7
	s_wait_alu 0xfffd
	v_cndmask_b32_e32 v7, v12, v11, vcc_lo
	v_add_co_u32 v11, vcc_lo, v5, 1
	s_wait_alu 0xfffd
	v_add_co_ci_u32_e64 v12, null, 0, v6, vcc_lo
	v_cmp_eq_u32_e32 vcc_lo, s3, v4
	s_wait_alu 0xfffd
	v_cndmask_b32_e32 v3, v13, v3, vcc_lo
	v_cmp_ne_u32_e32 vcc_lo, 0, v7
	v_xor_b32_e32 v7, s54, v9
	s_wait_alu 0xfffd
	v_cndmask_b32_e32 v4, v12, v10, vcc_lo
	v_cmp_ne_u32_e64 s0, 0, v3
	v_cndmask_b32_e32 v3, v11, v8, vcc_lo
	s_wait_alu 0xf1ff
	s_delay_alu instid0(VALU_DEP_2) | instskip(NEXT) | instid1(VALU_DEP_2)
	v_cndmask_b32_e64 v4, v6, v4, s0
	v_cndmask_b32_e64 v3, v5, v3, s0
	s_delay_alu instid0(VALU_DEP_2) | instskip(NEXT) | instid1(VALU_DEP_2)
	v_xor_b32_e32 v4, v4, v7
	v_xor_b32_e32 v3, v3, v7
	s_delay_alu instid0(VALU_DEP_1) | instskip(SKIP_1) | instid1(VALU_DEP_3)
	v_sub_co_u32 v8, vcc_lo, v3, v7
	s_wait_alu 0xfffd
	v_sub_co_ci_u32_e64 v9, null, v4, v7, vcc_lo
.LBB27_5:                               ;   in Loop: Header=BB27_3 Depth=1
	s_wait_alu 0xfffe
	s_and_not1_saveexec_b32 s0, s1
	s_cbranch_execz .LBB27_7
; %bb.6:                                ;   in Loop: Header=BB27_3 Depth=1
	s_sub_co_i32 s1, 0, s14
	v_mov_b32_e32 v9, v2
	s_wait_alu 0xfffe
	v_mul_lo_u32 v3, s1, v32
	s_delay_alu instid0(VALU_DEP_1) | instskip(NEXT) | instid1(VALU_DEP_1)
	v_mul_hi_u32 v3, v32, v3
	v_add_nc_u32_e32 v3, v32, v3
	s_delay_alu instid0(VALU_DEP_1) | instskip(NEXT) | instid1(VALU_DEP_1)
	v_mul_hi_u32 v3, v0, v3
	v_mul_lo_u32 v4, v3, s14
	s_delay_alu instid0(VALU_DEP_1) | instskip(NEXT) | instid1(VALU_DEP_1)
	v_sub_nc_u32_e32 v4, v0, v4
	v_subrev_nc_u32_e32 v6, s14, v4
	v_cmp_le_u32_e32 vcc_lo, s14, v4
	s_wait_alu 0xfffd
	s_delay_alu instid0(VALU_DEP_2) | instskip(NEXT) | instid1(VALU_DEP_1)
	v_dual_cndmask_b32 v4, v4, v6 :: v_dual_add_nc_u32 v5, 1, v3
	v_cndmask_b32_e32 v3, v3, v5, vcc_lo
	s_delay_alu instid0(VALU_DEP_2) | instskip(NEXT) | instid1(VALU_DEP_2)
	v_cmp_le_u32_e32 vcc_lo, s14, v4
	v_add_nc_u32_e32 v5, 1, v3
	s_wait_alu 0xfffd
	s_delay_alu instid0(VALU_DEP_1)
	v_cndmask_b32_e32 v8, v3, v5, vcc_lo
.LBB27_7:                               ;   in Loop: Header=BB27_3 Depth=1
	s_wait_alu 0xfffe
	s_or_b32 exec_lo, exec_lo, s0
	s_delay_alu instid0(VALU_DEP_1)
	v_add_co_u32 v10, vcc_lo, v8, s72
	v_mov_b32_e32 v4, 0
	s_wait_alu 0xfffd
	v_add_co_ci_u32_e64 v11, null, s33, v9, vcc_lo
	v_mov_b32_e32 v5, 0
	s_mov_b32 s1, exec_lo
	s_delay_alu instid0(VALU_DEP_2)
	v_cmpx_le_i64_e64 s[22:23], v[10:11]
	s_cbranch_execz .LBB27_13
; %bb.8:                                ;   in Loop: Header=BB27_3 Depth=1
	v_sub_co_u32 v6, vcc_lo, v10, s22
	s_wait_alu 0xfffd
	v_subrev_co_ci_u32_e64 v7, null, s23, v11, vcc_lo
                                        ; implicit-def: $vgpr4_vgpr5
	s_mov_b32 s0, exec_lo
	v_or_b32_e32 v3, s41, v7
	s_delay_alu instid0(VALU_DEP_1)
	v_cmpx_ne_u64_e32 0, v[2:3]
	s_wait_alu 0xfffe
	s_xor_b32 s55, exec_lo, s0
	s_cbranch_execz .LBB27_10
; %bb.9:                                ;   in Loop: Header=BB27_3 Depth=1
	s_ashr_i32 s2, s41, 31
	v_ashrrev_i32_e32 v14, 31, v7
	s_wait_alu 0xfffe
	s_mov_b32 s3, s2
	s_wait_alu 0xfffe
	s_add_nc_u64 s[56:57], s[40:41], s[2:3]
	v_add_co_u32 v3, vcc_lo, v6, v14
	s_wait_alu 0xfffe
	s_xor_b64 s[56:57], s[56:57], s[2:3]
	s_wait_alu 0xfffd
	v_add_co_ci_u32_e64 v4, null, v7, v14, vcc_lo
	s_wait_alu 0xfffe
	s_cvt_f32_u32 s0, s56
	s_cvt_f32_u32 s3, s57
	s_sub_nc_u64 s[60:61], 0, s[56:57]
	v_xor_b32_e32 v7, v3, v14
	v_xor_b32_e32 v15, v4, v14
	s_wait_alu 0xfffe
	s_fmamk_f32 s0, s3, 0x4f800000, s0
	s_wait_alu 0xfffe
	s_delay_alu instid0(SALU_CYCLE_2) | instskip(NEXT) | instid1(TRANS32_DEP_1)
	v_s_rcp_f32 s0, s0
	s_mul_f32 s0, s0, 0x5f7ffffc
	s_wait_alu 0xfffe
	s_delay_alu instid0(SALU_CYCLE_2) | instskip(SKIP_1) | instid1(SALU_CYCLE_2)
	s_mul_f32 s3, s0, 0x2f800000
	s_wait_alu 0xfffe
	s_trunc_f32 s3, s3
	s_wait_alu 0xfffe
	s_delay_alu instid0(SALU_CYCLE_2) | instskip(SKIP_2) | instid1(SALU_CYCLE_1)
	s_fmamk_f32 s0, s3, 0xcf800000, s0
	s_cvt_u32_f32 s59, s3
	s_wait_alu 0xfffe
	s_cvt_u32_f32 s58, s0
	s_wait_alu 0xfffe
	s_delay_alu instid0(SALU_CYCLE_2)
	s_mul_u64 s[62:63], s[60:61], s[58:59]
	s_wait_alu 0xfffe
	s_mul_hi_u32 s65, s58, s63
	s_mul_i32 s64, s58, s63
	s_mul_hi_u32 s34, s58, s62
	s_mul_i32 s3, s59, s62
	s_wait_alu 0xfffe
	s_add_nc_u64 s[64:65], s[34:35], s[64:65]
	s_mul_hi_u32 s0, s59, s62
	s_mul_hi_u32 s66, s59, s63
	s_add_co_u32 s3, s64, s3
	s_wait_alu 0xfffe
	s_add_co_ci_u32 s34, s65, s0
	s_mul_i32 s62, s59, s63
	s_add_co_ci_u32 s63, s66, 0
	s_wait_alu 0xfffe
	s_add_nc_u64 s[62:63], s[34:35], s[62:63]
	s_wait_alu 0xfffe
	s_add_co_u32 s58, s58, s62
	s_cselect_b32 s0, -1, 0
	s_wait_alu 0xfffe
	s_cmp_lg_u32 s0, 0
	s_add_co_ci_u32 s59, s59, s63
	s_wait_alu 0xfffe
	s_mul_u64 s[60:61], s[60:61], s[58:59]
	s_wait_alu 0xfffe
	s_mul_hi_u32 s63, s58, s61
	s_mul_i32 s62, s58, s61
	s_mul_hi_u32 s34, s58, s60
	s_mul_i32 s3, s59, s60
	s_wait_alu 0xfffe
	s_add_nc_u64 s[62:63], s[34:35], s[62:63]
	s_mul_hi_u32 s0, s59, s60
	s_mul_hi_u32 s64, s59, s61
	s_wait_alu 0xfffe
	s_add_co_u32 s3, s62, s3
	s_add_co_ci_u32 s34, s63, s0
	s_mul_i32 s60, s59, s61
	s_add_co_ci_u32 s61, s64, 0
	s_wait_alu 0xfffe
	s_add_nc_u64 s[60:61], s[34:35], s[60:61]
	s_wait_alu 0xfffe
	s_add_co_u32 s0, s58, s60
	s_cselect_b32 s3, -1, 0
	s_wait_alu 0xfffe
	v_mul_hi_u32 v16, v7, s0
	s_cmp_lg_u32 s3, 0
	v_mad_co_u64_u32 v[5:6], null, v15, s0, 0
	s_add_co_ci_u32 s3, s59, s61
	s_wait_alu 0xfffe
	v_mad_co_u64_u32 v[3:4], null, v7, s3, 0
	v_mad_co_u64_u32 v[12:13], null, v15, s3, 0
	s_delay_alu instid0(VALU_DEP_2) | instskip(SKIP_1) | instid1(VALU_DEP_3)
	v_add_co_u32 v3, vcc_lo, v16, v3
	s_wait_alu 0xfffd
	v_add_co_ci_u32_e64 v4, null, 0, v4, vcc_lo
	s_delay_alu instid0(VALU_DEP_2) | instskip(SKIP_1) | instid1(VALU_DEP_2)
	v_add_co_u32 v3, vcc_lo, v3, v5
	s_wait_alu 0xfffd
	v_add_co_ci_u32_e32 v3, vcc_lo, v4, v6, vcc_lo
	s_wait_alu 0xfffd
	v_add_co_ci_u32_e32 v4, vcc_lo, 0, v13, vcc_lo
	s_delay_alu instid0(VALU_DEP_2) | instskip(SKIP_1) | instid1(VALU_DEP_2)
	v_add_co_u32 v5, vcc_lo, v3, v12
	s_wait_alu 0xfffd
	v_add_co_ci_u32_e64 v6, null, 0, v4, vcc_lo
	s_delay_alu instid0(VALU_DEP_2) | instskip(SKIP_1) | instid1(VALU_DEP_3)
	v_mul_lo_u32 v12, s57, v5
	v_mad_co_u64_u32 v[3:4], null, s56, v5, 0
	v_mul_lo_u32 v13, s56, v6
	s_delay_alu instid0(VALU_DEP_2) | instskip(NEXT) | instid1(VALU_DEP_2)
	v_sub_co_u32 v3, vcc_lo, v7, v3
	v_add3_u32 v4, v4, v13, v12
	s_delay_alu instid0(VALU_DEP_1) | instskip(SKIP_2) | instid1(VALU_DEP_2)
	v_sub_nc_u32_e32 v12, v15, v4
	s_wait_alu 0xfffd
	v_sub_co_ci_u32_e64 v4, null, v15, v4, vcc_lo
	v_subrev_co_ci_u32_e64 v7, null, s57, v12, vcc_lo
	v_add_co_u32 v12, s0, v5, 2
	s_wait_alu 0xf1ff
	v_add_co_ci_u32_e64 v13, null, 0, v6, s0
	v_sub_co_u32 v16, s0, v3, s56
	s_wait_alu 0xf1ff
	v_subrev_co_ci_u32_e64 v7, null, 0, v7, s0
	s_delay_alu instid0(VALU_DEP_2) | instskip(SKIP_2) | instid1(VALU_DEP_3)
	v_cmp_le_u32_e32 vcc_lo, s56, v16
	s_wait_alu 0xfffd
	v_cndmask_b32_e64 v15, 0, -1, vcc_lo
	v_cmp_le_u32_e32 vcc_lo, s57, v7
	s_wait_alu 0xfffd
	v_cndmask_b32_e64 v16, 0, -1, vcc_lo
	;; [unrolled: 3-line block ×4, first 2 shown]
	v_cmp_eq_u32_e32 vcc_lo, s57, v7
	s_wait_alu 0xfffd
	v_cndmask_b32_e32 v7, v16, v15, vcc_lo
	v_add_co_u32 v15, vcc_lo, v5, 1
	s_wait_alu 0xfffd
	v_add_co_ci_u32_e64 v16, null, 0, v6, vcc_lo
	v_cmp_eq_u32_e32 vcc_lo, s57, v4
	s_wait_alu 0xfffd
	v_cndmask_b32_e32 v3, v17, v3, vcc_lo
	v_cmp_ne_u32_e32 vcc_lo, 0, v7
	v_xor_b32_e32 v7, s2, v14
	s_wait_alu 0xfffd
	v_cndmask_b32_e32 v4, v16, v13, vcc_lo
	v_cmp_ne_u32_e64 s0, 0, v3
	v_cndmask_b32_e32 v3, v15, v12, vcc_lo
	s_wait_alu 0xf1ff
	s_delay_alu instid0(VALU_DEP_2) | instskip(NEXT) | instid1(VALU_DEP_2)
	v_cndmask_b32_e64 v4, v6, v4, s0
	v_cndmask_b32_e64 v3, v5, v3, s0
                                        ; implicit-def: $vgpr6
	s_delay_alu instid0(VALU_DEP_2) | instskip(NEXT) | instid1(VALU_DEP_2)
	v_xor_b32_e32 v5, v4, v7
	v_xor_b32_e32 v3, v3, v7
	s_delay_alu instid0(VALU_DEP_1) | instskip(SKIP_1) | instid1(VALU_DEP_3)
	v_sub_co_u32 v4, vcc_lo, v3, v7
	s_wait_alu 0xfffd
	v_sub_co_ci_u32_e64 v5, null, v5, v7, vcc_lo
.LBB27_10:                              ;   in Loop: Header=BB27_3 Depth=1
	s_wait_alu 0xfffe
	s_and_not1_saveexec_b32 s0, s55
	s_cbranch_execz .LBB27_12
; %bb.11:                               ;   in Loop: Header=BB27_3 Depth=1
	s_sub_co_i32 s2, 0, s40
	s_wait_alu 0xfffe
	v_mul_lo_u32 v3, s2, v33
	s_delay_alu instid0(VALU_DEP_1) | instskip(NEXT) | instid1(VALU_DEP_1)
	v_mul_hi_u32 v3, v33, v3
	v_add_nc_u32_e32 v3, v33, v3
	s_delay_alu instid0(VALU_DEP_1) | instskip(NEXT) | instid1(VALU_DEP_1)
	v_mul_hi_u32 v3, v6, v3
	v_mul_lo_u32 v4, v3, s40
	v_add_nc_u32_e32 v5, 1, v3
	s_delay_alu instid0(VALU_DEP_2) | instskip(NEXT) | instid1(VALU_DEP_1)
	v_sub_nc_u32_e32 v4, v6, v4
	v_subrev_nc_u32_e32 v6, s40, v4
	v_cmp_le_u32_e32 vcc_lo, s40, v4
	s_wait_alu 0xfffd
	s_delay_alu instid0(VALU_DEP_2) | instskip(NEXT) | instid1(VALU_DEP_1)
	v_dual_cndmask_b32 v4, v4, v6 :: v_dual_cndmask_b32 v3, v3, v5
	v_cmp_le_u32_e32 vcc_lo, s40, v4
	s_delay_alu instid0(VALU_DEP_2) | instskip(SKIP_1) | instid1(VALU_DEP_1)
	v_add_nc_u32_e32 v5, 1, v3
	s_wait_alu 0xfffd
	v_dual_cndmask_b32 v4, v3, v5 :: v_dual_mov_b32 v5, v2
.LBB27_12:                              ;   in Loop: Header=BB27_3 Depth=1
	s_wait_alu 0xfffe
	s_or_b32 exec_lo, exec_lo, s0
	s_delay_alu instid0(VALU_DEP_1)
	v_add_co_u32 v4, vcc_lo, v4, 1
	s_wait_alu 0xfffd
	v_add_co_ci_u32_e64 v5, null, 0, v5, vcc_lo
.LBB27_13:                              ;   in Loop: Header=BB27_3 Depth=1
	s_wait_alu 0xfffe
	s_or_b32 exec_lo, exec_lo, s1
	v_or_b32_e32 v3, s41, v11
                                        ; implicit-def: $vgpr6_vgpr7
	s_mov_b32 s0, exec_lo
	s_delay_alu instid0(VALU_DEP_1)
	v_cmpx_ne_u64_e32 0, v[2:3]
	s_wait_alu 0xfffe
	s_xor_b32 s1, exec_lo, s0
	s_cbranch_execz .LBB27_15
; %bb.14:                               ;   in Loop: Header=BB27_3 Depth=1
	s_ashr_i32 s2, s41, 31
	v_ashrrev_i32_e32 v3, 31, v11
	s_wait_alu 0xfffe
	s_mov_b32 s3, s2
	s_wait_alu 0xfffe
	s_add_nc_u64 s[56:57], s[40:41], s[2:3]
	v_add_co_u32 v6, vcc_lo, v10, v3
	s_wait_alu 0xfffe
	s_xor_b64 s[56:57], s[56:57], s[2:3]
	s_wait_alu 0xfffd
	v_add_co_ci_u32_e64 v7, null, v11, v3, vcc_lo
	s_wait_alu 0xfffe
	s_cvt_f32_u32 s0, s56
	s_cvt_f32_u32 s3, s57
	s_sub_nc_u64 s[60:61], 0, s[56:57]
	v_xor_b32_e32 v14, v6, v3
	v_xor_b32_e32 v15, v7, v3
	s_wait_alu 0xfffe
	s_fmamk_f32 s0, s3, 0x4f800000, s0
	v_xor_b32_e32 v3, s2, v3
	s_wait_alu 0xfffe
	s_delay_alu instid0(SALU_CYCLE_1) | instskip(NEXT) | instid1(TRANS32_DEP_1)
	v_s_rcp_f32 s0, s0
	s_mul_f32 s0, s0, 0x5f7ffffc
	s_wait_alu 0xfffe
	s_delay_alu instid0(SALU_CYCLE_2) | instskip(SKIP_1) | instid1(SALU_CYCLE_2)
	s_mul_f32 s3, s0, 0x2f800000
	s_wait_alu 0xfffe
	s_trunc_f32 s3, s3
	s_wait_alu 0xfffe
	s_delay_alu instid0(SALU_CYCLE_2) | instskip(SKIP_2) | instid1(SALU_CYCLE_1)
	s_fmamk_f32 s0, s3, 0xcf800000, s0
	s_cvt_u32_f32 s59, s3
	s_wait_alu 0xfffe
	s_cvt_u32_f32 s58, s0
	s_wait_alu 0xfffe
	s_delay_alu instid0(SALU_CYCLE_2)
	s_mul_u64 s[62:63], s[60:61], s[58:59]
	s_wait_alu 0xfffe
	s_mul_hi_u32 s65, s58, s63
	s_mul_i32 s64, s58, s63
	s_mul_hi_u32 s34, s58, s62
	s_mul_i32 s3, s59, s62
	s_wait_alu 0xfffe
	s_add_nc_u64 s[64:65], s[34:35], s[64:65]
	s_mul_hi_u32 s0, s59, s62
	s_mul_hi_u32 s55, s59, s63
	s_add_co_u32 s3, s64, s3
	s_wait_alu 0xfffe
	s_add_co_ci_u32 s34, s65, s0
	s_mul_i32 s62, s59, s63
	s_add_co_ci_u32 s63, s55, 0
	s_wait_alu 0xfffe
	s_add_nc_u64 s[62:63], s[34:35], s[62:63]
	s_wait_alu 0xfffe
	s_add_co_u32 s58, s58, s62
	s_cselect_b32 s0, -1, 0
	s_wait_alu 0xfffe
	s_cmp_lg_u32 s0, 0
	s_add_co_ci_u32 s59, s59, s63
	s_wait_alu 0xfffe
	s_mul_u64 s[60:61], s[60:61], s[58:59]
	s_wait_alu 0xfffe
	s_mul_hi_u32 s63, s58, s61
	s_mul_i32 s62, s58, s61
	s_mul_hi_u32 s34, s58, s60
	s_mul_i32 s3, s59, s60
	s_wait_alu 0xfffe
	s_add_nc_u64 s[62:63], s[34:35], s[62:63]
	s_mul_hi_u32 s0, s59, s60
	s_mul_hi_u32 s55, s59, s61
	s_wait_alu 0xfffe
	s_add_co_u32 s3, s62, s3
	s_add_co_ci_u32 s34, s63, s0
	s_mul_i32 s60, s59, s61
	s_add_co_ci_u32 s61, s55, 0
	s_wait_alu 0xfffe
	s_add_nc_u64 s[60:61], s[34:35], s[60:61]
	s_wait_alu 0xfffe
	s_add_co_u32 s0, s58, s60
	s_cselect_b32 s3, -1, 0
	s_wait_alu 0xfffe
	v_mul_hi_u32 v16, v14, s0
	s_cmp_lg_u32 s3, 0
	v_mad_co_u64_u32 v[10:11], null, v15, s0, 0
	s_add_co_ci_u32 s3, s59, s61
	s_wait_alu 0xfffe
	v_mad_co_u64_u32 v[6:7], null, v14, s3, 0
	v_mad_co_u64_u32 v[12:13], null, v15, s3, 0
	s_delay_alu instid0(VALU_DEP_2) | instskip(SKIP_1) | instid1(VALU_DEP_3)
	v_add_co_u32 v6, vcc_lo, v16, v6
	s_wait_alu 0xfffd
	v_add_co_ci_u32_e64 v7, null, 0, v7, vcc_lo
	s_delay_alu instid0(VALU_DEP_2) | instskip(SKIP_1) | instid1(VALU_DEP_2)
	v_add_co_u32 v6, vcc_lo, v6, v10
	s_wait_alu 0xfffd
	v_add_co_ci_u32_e32 v6, vcc_lo, v7, v11, vcc_lo
	s_wait_alu 0xfffd
	v_add_co_ci_u32_e32 v7, vcc_lo, 0, v13, vcc_lo
	s_delay_alu instid0(VALU_DEP_2) | instskip(SKIP_1) | instid1(VALU_DEP_2)
	v_add_co_u32 v10, vcc_lo, v6, v12
	s_wait_alu 0xfffd
	v_add_co_ci_u32_e64 v11, null, 0, v7, vcc_lo
	s_delay_alu instid0(VALU_DEP_2) | instskip(SKIP_1) | instid1(VALU_DEP_3)
	v_mul_lo_u32 v12, s57, v10
	v_mad_co_u64_u32 v[6:7], null, s56, v10, 0
	v_mul_lo_u32 v13, s56, v11
	s_delay_alu instid0(VALU_DEP_2) | instskip(NEXT) | instid1(VALU_DEP_2)
	v_sub_co_u32 v6, vcc_lo, v14, v6
	v_add3_u32 v7, v7, v13, v12
	v_add_co_u32 v13, s0, v10, 2
	s_wait_alu 0xf1ff
	v_add_co_ci_u32_e64 v14, null, 0, v11, s0
	s_delay_alu instid0(VALU_DEP_3) | instskip(SKIP_3) | instid1(VALU_DEP_3)
	v_sub_nc_u32_e32 v12, v15, v7
	v_sub_co_u32 v16, s0, v6, s56
	s_wait_alu 0xfffd
	v_sub_co_ci_u32_e64 v7, null, v15, v7, vcc_lo
	v_subrev_co_ci_u32_e64 v12, null, s57, v12, vcc_lo
	s_delay_alu instid0(VALU_DEP_3) | instskip(SKIP_1) | instid1(VALU_DEP_2)
	v_cmp_le_u32_e32 vcc_lo, s56, v16
	s_wait_alu 0xf1ff
	v_subrev_co_ci_u32_e64 v12, null, 0, v12, s0
	s_wait_alu 0xfffd
	v_cndmask_b32_e64 v15, 0, -1, vcc_lo
	s_delay_alu instid0(VALU_DEP_2)
	v_cmp_le_u32_e32 vcc_lo, s57, v12
	s_wait_alu 0xfffd
	v_cndmask_b32_e64 v16, 0, -1, vcc_lo
	v_cmp_le_u32_e32 vcc_lo, s56, v6
	s_wait_alu 0xfffd
	v_cndmask_b32_e64 v6, 0, -1, vcc_lo
	;; [unrolled: 3-line block ×3, first 2 shown]
	v_cmp_eq_u32_e32 vcc_lo, s57, v12
	s_wait_alu 0xfffd
	v_cndmask_b32_e32 v12, v16, v15, vcc_lo
	v_add_co_u32 v15, vcc_lo, v10, 1
	s_wait_alu 0xfffd
	v_add_co_ci_u32_e64 v16, null, 0, v11, vcc_lo
	v_cmp_eq_u32_e32 vcc_lo, s57, v7
	s_wait_alu 0xfffd
	v_cndmask_b32_e32 v6, v17, v6, vcc_lo
	v_cmp_ne_u32_e32 vcc_lo, 0, v12
	s_delay_alu instid0(VALU_DEP_2) | instskip(SKIP_3) | instid1(VALU_DEP_1)
	v_cmp_ne_u32_e64 s0, 0, v6
	s_wait_alu 0xfffd
	v_dual_cndmask_b32 v7, v16, v14 :: v_dual_cndmask_b32 v6, v15, v13
	s_wait_alu 0xf1ff
	v_cndmask_b32_e64 v7, v11, v7, s0
	s_delay_alu instid0(VALU_DEP_2) | instskip(NEXT) | instid1(VALU_DEP_2)
	v_cndmask_b32_e64 v6, v10, v6, s0
                                        ; implicit-def: $vgpr10
	v_xor_b32_e32 v7, v7, v3
	s_delay_alu instid0(VALU_DEP_2) | instskip(NEXT) | instid1(VALU_DEP_1)
	v_xor_b32_e32 v6, v6, v3
	v_sub_co_u32 v6, vcc_lo, v6, v3
	s_wait_alu 0xfffd
	s_delay_alu instid0(VALU_DEP_3)
	v_sub_co_ci_u32_e64 v7, null, v7, v3, vcc_lo
.LBB27_15:                              ;   in Loop: Header=BB27_3 Depth=1
	s_wait_alu 0xfffe
	s_and_not1_saveexec_b32 s0, s1
	s_cbranch_execz .LBB27_17
; %bb.16:                               ;   in Loop: Header=BB27_3 Depth=1
	s_sub_co_i32 s1, 0, s40
	s_wait_alu 0xfffe
	v_mul_lo_u32 v3, s1, v33
	s_delay_alu instid0(VALU_DEP_1) | instskip(NEXT) | instid1(VALU_DEP_1)
	v_mul_hi_u32 v3, v33, v3
	v_add_nc_u32_e32 v3, v33, v3
	s_delay_alu instid0(VALU_DEP_1) | instskip(NEXT) | instid1(VALU_DEP_1)
	v_mul_hi_u32 v3, v10, v3
	v_mul_lo_u32 v6, v3, s40
	v_add_nc_u32_e32 v7, 1, v3
	s_delay_alu instid0(VALU_DEP_2) | instskip(NEXT) | instid1(VALU_DEP_1)
	v_sub_nc_u32_e32 v6, v10, v6
	v_subrev_nc_u32_e32 v10, s40, v6
	v_cmp_le_u32_e32 vcc_lo, s40, v6
	s_wait_alu 0xfffd
	s_delay_alu instid0(VALU_DEP_2) | instskip(NEXT) | instid1(VALU_DEP_1)
	v_dual_cndmask_b32 v6, v6, v10 :: v_dual_cndmask_b32 v3, v3, v7
	v_cmp_le_u32_e32 vcc_lo, s40, v6
	s_delay_alu instid0(VALU_DEP_2) | instskip(SKIP_1) | instid1(VALU_DEP_1)
	v_add_nc_u32_e32 v7, 1, v3
	s_wait_alu 0xfffd
	v_dual_cndmask_b32 v6, v3, v7 :: v_dual_mov_b32 v7, v2
.LBB27_17:                              ;   in Loop: Header=BB27_3 Depth=1
	s_wait_alu 0xfffe
	s_or_b32 exec_lo, exec_lo, s0
	v_mul_lo_u32 v3, v9, s14
	v_mul_lo_u32 v10, v8, s15
	v_mad_co_u64_u32 v[8:9], null, v8, s14, 0
	s_mov_b32 s1, exec_lo
	v_add3_u32 v3, v9, v10, v3
	v_sub_co_u32 v8, vcc_lo, v0, v8
	s_wait_alu 0xfffd
	s_delay_alu instid0(VALU_DEP_2) | instskip(NEXT) | instid1(VALU_DEP_2)
	v_sub_co_ci_u32_e64 v3, null, v1, v3, vcc_lo
	v_add_co_u32 v10, vcc_lo, v8, s74
	v_mov_b32_e32 v8, 0
	s_wait_alu 0xfffd
	s_delay_alu instid0(VALU_DEP_3) | instskip(SKIP_1) | instid1(VALU_DEP_2)
	v_add_co_ci_u32_e64 v11, null, s73, v3, vcc_lo
	v_mov_b32_e32 v9, 0
	v_cmpx_le_i64_e64 s[24:25], v[10:11]
	s_cbranch_execz .LBB27_23
; %bb.18:                               ;   in Loop: Header=BB27_3 Depth=1
	v_sub_co_u32 v12, vcc_lo, v10, s24
	s_wait_alu 0xfffd
	v_subrev_co_ci_u32_e64 v13, null, s25, v11, vcc_lo
                                        ; implicit-def: $vgpr8_vgpr9
	s_mov_b32 s0, exec_lo
	v_or_b32_e32 v3, s21, v13
	s_delay_alu instid0(VALU_DEP_1)
	v_cmpx_ne_u64_e32 0, v[2:3]
	s_wait_alu 0xfffe
	s_xor_b32 s55, exec_lo, s0
	s_cbranch_execz .LBB27_20
; %bb.19:                               ;   in Loop: Header=BB27_3 Depth=1
	s_ashr_i32 s2, s21, 31
	v_ashrrev_i32_e32 v3, 31, v13
	s_wait_alu 0xfffe
	s_mov_b32 s3, s2
	s_wait_alu 0xfffe
	s_add_nc_u64 s[56:57], s[20:21], s[2:3]
	v_add_co_u32 v8, vcc_lo, v12, v3
	s_wait_alu 0xfffe
	s_xor_b64 s[56:57], s[56:57], s[2:3]
	s_wait_alu 0xfffd
	v_add_co_ci_u32_e64 v9, null, v13, v3, vcc_lo
	s_wait_alu 0xfffe
	s_cvt_f32_u32 s0, s56
	s_cvt_f32_u32 s3, s57
	s_sub_nc_u64 s[60:61], 0, s[56:57]
	v_xor_b32_e32 v16, v8, v3
	v_xor_b32_e32 v17, v9, v3
	s_wait_alu 0xfffe
	s_fmamk_f32 s0, s3, 0x4f800000, s0
	v_xor_b32_e32 v3, s2, v3
	s_wait_alu 0xfffe
	s_delay_alu instid0(SALU_CYCLE_1) | instskip(NEXT) | instid1(TRANS32_DEP_1)
	v_s_rcp_f32 s0, s0
	s_mul_f32 s0, s0, 0x5f7ffffc
	s_wait_alu 0xfffe
	s_delay_alu instid0(SALU_CYCLE_2) | instskip(SKIP_1) | instid1(SALU_CYCLE_2)
	s_mul_f32 s3, s0, 0x2f800000
	s_wait_alu 0xfffe
	s_trunc_f32 s3, s3
	s_wait_alu 0xfffe
	s_delay_alu instid0(SALU_CYCLE_2) | instskip(SKIP_2) | instid1(SALU_CYCLE_1)
	s_fmamk_f32 s0, s3, 0xcf800000, s0
	s_cvt_u32_f32 s59, s3
	s_wait_alu 0xfffe
	s_cvt_u32_f32 s58, s0
	s_wait_alu 0xfffe
	s_delay_alu instid0(SALU_CYCLE_2)
	s_mul_u64 s[62:63], s[60:61], s[58:59]
	s_wait_alu 0xfffe
	s_mul_hi_u32 s65, s58, s63
	s_mul_i32 s64, s58, s63
	s_mul_hi_u32 s34, s58, s62
	s_mul_i32 s3, s59, s62
	s_wait_alu 0xfffe
	s_add_nc_u64 s[64:65], s[34:35], s[64:65]
	s_mul_hi_u32 s0, s59, s62
	s_mul_hi_u32 s66, s59, s63
	s_add_co_u32 s3, s64, s3
	s_wait_alu 0xfffe
	s_add_co_ci_u32 s34, s65, s0
	s_mul_i32 s62, s59, s63
	s_add_co_ci_u32 s63, s66, 0
	s_wait_alu 0xfffe
	s_add_nc_u64 s[62:63], s[34:35], s[62:63]
	s_wait_alu 0xfffe
	s_add_co_u32 s58, s58, s62
	s_cselect_b32 s0, -1, 0
	s_wait_alu 0xfffe
	s_cmp_lg_u32 s0, 0
	s_add_co_ci_u32 s59, s59, s63
	s_wait_alu 0xfffe
	s_mul_u64 s[60:61], s[60:61], s[58:59]
	s_wait_alu 0xfffe
	s_mul_hi_u32 s63, s58, s61
	s_mul_i32 s62, s58, s61
	s_mul_hi_u32 s34, s58, s60
	s_mul_i32 s3, s59, s60
	s_wait_alu 0xfffe
	s_add_nc_u64 s[62:63], s[34:35], s[62:63]
	s_mul_hi_u32 s0, s59, s60
	s_mul_hi_u32 s64, s59, s61
	s_wait_alu 0xfffe
	s_add_co_u32 s3, s62, s3
	s_add_co_ci_u32 s34, s63, s0
	s_mul_i32 s60, s59, s61
	s_add_co_ci_u32 s61, s64, 0
	s_wait_alu 0xfffe
	s_add_nc_u64 s[60:61], s[34:35], s[60:61]
	s_wait_alu 0xfffe
	s_add_co_u32 s0, s58, s60
	s_cselect_b32 s3, -1, 0
	s_wait_alu 0xfffe
	v_mul_hi_u32 v18, v16, s0
	s_cmp_lg_u32 s3, 0
	v_mad_co_u64_u32 v[12:13], null, v17, s0, 0
	s_add_co_ci_u32 s3, s59, s61
	s_wait_alu 0xfffe
	v_mad_co_u64_u32 v[8:9], null, v16, s3, 0
	v_mad_co_u64_u32 v[14:15], null, v17, s3, 0
	s_delay_alu instid0(VALU_DEP_2) | instskip(SKIP_1) | instid1(VALU_DEP_3)
	v_add_co_u32 v8, vcc_lo, v18, v8
	s_wait_alu 0xfffd
	v_add_co_ci_u32_e64 v9, null, 0, v9, vcc_lo
	s_delay_alu instid0(VALU_DEP_2) | instskip(SKIP_1) | instid1(VALU_DEP_2)
	v_add_co_u32 v8, vcc_lo, v8, v12
	s_wait_alu 0xfffd
	v_add_co_ci_u32_e32 v8, vcc_lo, v9, v13, vcc_lo
	s_wait_alu 0xfffd
	v_add_co_ci_u32_e32 v9, vcc_lo, 0, v15, vcc_lo
	s_delay_alu instid0(VALU_DEP_2) | instskip(SKIP_1) | instid1(VALU_DEP_2)
	v_add_co_u32 v12, vcc_lo, v8, v14
	s_wait_alu 0xfffd
	v_add_co_ci_u32_e64 v13, null, 0, v9, vcc_lo
	s_delay_alu instid0(VALU_DEP_2) | instskip(SKIP_1) | instid1(VALU_DEP_3)
	v_mul_lo_u32 v14, s57, v12
	v_mad_co_u64_u32 v[8:9], null, s56, v12, 0
	v_mul_lo_u32 v15, s56, v13
	s_delay_alu instid0(VALU_DEP_2) | instskip(NEXT) | instid1(VALU_DEP_2)
	v_sub_co_u32 v8, vcc_lo, v16, v8
	v_add3_u32 v9, v9, v15, v14
	v_add_co_u32 v15, s0, v12, 2
	s_wait_alu 0xf1ff
	v_add_co_ci_u32_e64 v16, null, 0, v13, s0
	s_delay_alu instid0(VALU_DEP_3) | instskip(SKIP_3) | instid1(VALU_DEP_3)
	v_sub_nc_u32_e32 v14, v17, v9
	v_sub_co_u32 v18, s0, v8, s56
	s_wait_alu 0xfffd
	v_sub_co_ci_u32_e64 v9, null, v17, v9, vcc_lo
	v_subrev_co_ci_u32_e64 v14, null, s57, v14, vcc_lo
	s_delay_alu instid0(VALU_DEP_3) | instskip(SKIP_1) | instid1(VALU_DEP_2)
	v_cmp_le_u32_e32 vcc_lo, s56, v18
	s_wait_alu 0xf1ff
	v_subrev_co_ci_u32_e64 v14, null, 0, v14, s0
	s_wait_alu 0xfffd
	v_cndmask_b32_e64 v17, 0, -1, vcc_lo
	s_delay_alu instid0(VALU_DEP_2)
	v_cmp_le_u32_e32 vcc_lo, s57, v14
	s_wait_alu 0xfffd
	v_cndmask_b32_e64 v18, 0, -1, vcc_lo
	v_cmp_le_u32_e32 vcc_lo, s56, v8
	s_wait_alu 0xfffd
	v_cndmask_b32_e64 v8, 0, -1, vcc_lo
	;; [unrolled: 3-line block ×3, first 2 shown]
	v_cmp_eq_u32_e32 vcc_lo, s57, v14
	s_wait_alu 0xfffd
	v_cndmask_b32_e32 v14, v18, v17, vcc_lo
	v_add_co_u32 v17, vcc_lo, v12, 1
	s_wait_alu 0xfffd
	v_add_co_ci_u32_e64 v18, null, 0, v13, vcc_lo
	v_cmp_eq_u32_e32 vcc_lo, s57, v9
	s_wait_alu 0xfffd
	v_cndmask_b32_e32 v8, v19, v8, vcc_lo
	v_cmp_ne_u32_e32 vcc_lo, 0, v14
	s_delay_alu instid0(VALU_DEP_2) | instskip(SKIP_3) | instid1(VALU_DEP_1)
	v_cmp_ne_u32_e64 s0, 0, v8
	s_wait_alu 0xfffd
	v_dual_cndmask_b32 v9, v18, v16 :: v_dual_cndmask_b32 v8, v17, v15
	s_wait_alu 0xf1ff
	v_cndmask_b32_e64 v9, v13, v9, s0
	s_delay_alu instid0(VALU_DEP_2) | instskip(NEXT) | instid1(VALU_DEP_2)
	v_cndmask_b32_e64 v8, v12, v8, s0
                                        ; implicit-def: $vgpr12
	v_xor_b32_e32 v9, v9, v3
	s_delay_alu instid0(VALU_DEP_2) | instskip(NEXT) | instid1(VALU_DEP_1)
	v_xor_b32_e32 v8, v8, v3
	v_sub_co_u32 v8, vcc_lo, v8, v3
	s_wait_alu 0xfffd
	s_delay_alu instid0(VALU_DEP_3)
	v_sub_co_ci_u32_e64 v9, null, v9, v3, vcc_lo
.LBB27_20:                              ;   in Loop: Header=BB27_3 Depth=1
	s_wait_alu 0xfffe
	s_and_not1_saveexec_b32 s0, s55
	s_cbranch_execz .LBB27_22
; %bb.21:                               ;   in Loop: Header=BB27_3 Depth=1
	v_cvt_f32_u32_e32 v3, s20
	s_sub_co_i32 s2, 0, s20
	s_delay_alu instid0(VALU_DEP_1) | instskip(NEXT) | instid1(TRANS32_DEP_1)
	v_rcp_iflag_f32_e32 v3, v3
	v_mul_f32_e32 v3, 0x4f7ffffe, v3
	s_delay_alu instid0(VALU_DEP_1) | instskip(SKIP_1) | instid1(VALU_DEP_1)
	v_cvt_u32_f32_e32 v3, v3
	s_wait_alu 0xfffe
	v_mul_lo_u32 v8, s2, v3
	s_delay_alu instid0(VALU_DEP_1) | instskip(NEXT) | instid1(VALU_DEP_1)
	v_mul_hi_u32 v8, v3, v8
	v_add_nc_u32_e32 v3, v3, v8
	s_delay_alu instid0(VALU_DEP_1) | instskip(NEXT) | instid1(VALU_DEP_1)
	v_mul_hi_u32 v3, v12, v3
	v_mul_lo_u32 v8, v3, s20
	v_add_nc_u32_e32 v9, 1, v3
	s_delay_alu instid0(VALU_DEP_2) | instskip(NEXT) | instid1(VALU_DEP_1)
	v_sub_nc_u32_e32 v8, v12, v8
	v_subrev_nc_u32_e32 v12, s20, v8
	v_cmp_le_u32_e32 vcc_lo, s20, v8
	s_wait_alu 0xfffd
	s_delay_alu instid0(VALU_DEP_2) | instskip(NEXT) | instid1(VALU_DEP_1)
	v_dual_cndmask_b32 v8, v8, v12 :: v_dual_cndmask_b32 v3, v3, v9
	v_cmp_le_u32_e32 vcc_lo, s20, v8
	s_delay_alu instid0(VALU_DEP_2) | instskip(SKIP_1) | instid1(VALU_DEP_1)
	v_add_nc_u32_e32 v9, 1, v3
	s_wait_alu 0xfffd
	v_dual_cndmask_b32 v8, v3, v9 :: v_dual_mov_b32 v9, v2
.LBB27_22:                              ;   in Loop: Header=BB27_3 Depth=1
	s_wait_alu 0xfffe
	s_or_b32 exec_lo, exec_lo, s0
	s_delay_alu instid0(VALU_DEP_1)
	v_add_co_u32 v8, vcc_lo, v8, 1
	s_wait_alu 0xfffd
	v_add_co_ci_u32_e64 v9, null, 0, v9, vcc_lo
.LBB27_23:                              ;   in Loop: Header=BB27_3 Depth=1
	s_wait_alu 0xfffe
	s_or_b32 exec_lo, exec_lo, s1
	v_or_b32_e32 v3, s21, v11
                                        ; implicit-def: $vgpr12_vgpr13
	s_mov_b32 s0, exec_lo
	s_delay_alu instid0(VALU_DEP_1)
	v_cmpx_ne_u64_e32 0, v[2:3]
	s_wait_alu 0xfffe
	s_xor_b32 s1, exec_lo, s0
	s_cbranch_execnz .LBB27_26
; %bb.24:                               ;   in Loop: Header=BB27_3 Depth=1
	s_wait_alu 0xfffe
	s_and_not1_saveexec_b32 s0, s1
	s_cbranch_execnz .LBB27_27
.LBB27_25:                              ;   in Loop: Header=BB27_3 Depth=1
	s_wait_alu 0xfffe
	s_or_b32 exec_lo, exec_lo, s0
	s_delay_alu instid0(SALU_CYCLE_1)
	s_and_not1_b32 vcc_lo, exec_lo, s75
	s_wait_alu 0xfffe
	s_cbranch_vccnz .LBB27_2
	s_branch .LBB27_28
.LBB27_26:                              ;   in Loop: Header=BB27_3 Depth=1
	s_ashr_i32 s2, s21, 31
	v_ashrrev_i32_e32 v3, 31, v11
	s_wait_alu 0xfffe
	s_mov_b32 s3, s2
	s_wait_alu 0xfffe
	s_add_nc_u64 s[56:57], s[20:21], s[2:3]
	v_add_co_u32 v10, vcc_lo, v10, v3
	s_wait_alu 0xfffe
	s_xor_b64 s[56:57], s[56:57], s[2:3]
	s_wait_alu 0xfffd
	v_add_co_ci_u32_e64 v11, null, v11, v3, vcc_lo
	s_wait_alu 0xfffe
	s_cvt_f32_u32 s0, s56
	s_cvt_f32_u32 s3, s57
	s_sub_nc_u64 s[60:61], 0, s[56:57]
	v_xor_b32_e32 v16, v10, v3
	v_xor_b32_e32 v17, v11, v3
	s_wait_alu 0xfffe
	s_fmamk_f32 s0, s3, 0x4f800000, s0
	v_xor_b32_e32 v3, s2, v3
	s_wait_alu 0xfffe
	s_delay_alu instid0(SALU_CYCLE_1) | instskip(NEXT) | instid1(TRANS32_DEP_1)
	v_s_rcp_f32 s0, s0
	s_mul_f32 s0, s0, 0x5f7ffffc
	s_wait_alu 0xfffe
	s_delay_alu instid0(SALU_CYCLE_2) | instskip(SKIP_1) | instid1(SALU_CYCLE_2)
	s_mul_f32 s3, s0, 0x2f800000
	s_wait_alu 0xfffe
	s_trunc_f32 s3, s3
	s_wait_alu 0xfffe
	s_delay_alu instid0(SALU_CYCLE_2) | instskip(SKIP_2) | instid1(SALU_CYCLE_1)
	s_fmamk_f32 s0, s3, 0xcf800000, s0
	s_cvt_u32_f32 s59, s3
	s_wait_alu 0xfffe
	s_cvt_u32_f32 s58, s0
	s_wait_alu 0xfffe
	s_delay_alu instid0(SALU_CYCLE_2)
	s_mul_u64 s[62:63], s[60:61], s[58:59]
	s_wait_alu 0xfffe
	s_mul_hi_u32 s65, s58, s63
	s_mul_i32 s64, s58, s63
	s_mul_hi_u32 s34, s58, s62
	s_mul_i32 s3, s59, s62
	s_wait_alu 0xfffe
	s_add_nc_u64 s[64:65], s[34:35], s[64:65]
	s_mul_hi_u32 s0, s59, s62
	s_mul_hi_u32 s55, s59, s63
	s_add_co_u32 s3, s64, s3
	s_wait_alu 0xfffe
	s_add_co_ci_u32 s34, s65, s0
	s_mul_i32 s62, s59, s63
	s_add_co_ci_u32 s63, s55, 0
	s_wait_alu 0xfffe
	s_add_nc_u64 s[62:63], s[34:35], s[62:63]
	s_wait_alu 0xfffe
	s_add_co_u32 s58, s58, s62
	s_cselect_b32 s0, -1, 0
	s_wait_alu 0xfffe
	s_cmp_lg_u32 s0, 0
	s_add_co_ci_u32 s59, s59, s63
	s_wait_alu 0xfffe
	s_mul_u64 s[60:61], s[60:61], s[58:59]
	s_wait_alu 0xfffe
	s_mul_hi_u32 s63, s58, s61
	s_mul_i32 s62, s58, s61
	s_mul_hi_u32 s34, s58, s60
	s_mul_i32 s3, s59, s60
	s_wait_alu 0xfffe
	s_add_nc_u64 s[62:63], s[34:35], s[62:63]
	s_mul_hi_u32 s0, s59, s60
	s_mul_hi_u32 s55, s59, s61
	s_wait_alu 0xfffe
	s_add_co_u32 s3, s62, s3
	s_add_co_ci_u32 s34, s63, s0
	s_mul_i32 s60, s59, s61
	s_add_co_ci_u32 s61, s55, 0
	s_wait_alu 0xfffe
	s_add_nc_u64 s[60:61], s[34:35], s[60:61]
	s_wait_alu 0xfffe
	s_add_co_u32 s0, s58, s60
	s_cselect_b32 s3, -1, 0
	s_wait_alu 0xfffe
	v_mul_hi_u32 v18, v16, s0
	s_cmp_lg_u32 s3, 0
	v_mad_co_u64_u32 v[12:13], null, v17, s0, 0
	s_add_co_ci_u32 s3, s59, s61
	s_wait_alu 0xfffe
	v_mad_co_u64_u32 v[10:11], null, v16, s3, 0
	v_mad_co_u64_u32 v[14:15], null, v17, s3, 0
	s_delay_alu instid0(VALU_DEP_2) | instskip(SKIP_1) | instid1(VALU_DEP_3)
	v_add_co_u32 v10, vcc_lo, v18, v10
	s_wait_alu 0xfffd
	v_add_co_ci_u32_e64 v11, null, 0, v11, vcc_lo
	s_delay_alu instid0(VALU_DEP_2) | instskip(SKIP_1) | instid1(VALU_DEP_2)
	v_add_co_u32 v10, vcc_lo, v10, v12
	s_wait_alu 0xfffd
	v_add_co_ci_u32_e32 v10, vcc_lo, v11, v13, vcc_lo
	s_wait_alu 0xfffd
	v_add_co_ci_u32_e32 v11, vcc_lo, 0, v15, vcc_lo
	s_delay_alu instid0(VALU_DEP_2) | instskip(SKIP_1) | instid1(VALU_DEP_2)
	v_add_co_u32 v12, vcc_lo, v10, v14
	s_wait_alu 0xfffd
	v_add_co_ci_u32_e64 v13, null, 0, v11, vcc_lo
	s_delay_alu instid0(VALU_DEP_2) | instskip(SKIP_1) | instid1(VALU_DEP_3)
	v_mul_lo_u32 v14, s57, v12
	v_mad_co_u64_u32 v[10:11], null, s56, v12, 0
	v_mul_lo_u32 v15, s56, v13
	s_delay_alu instid0(VALU_DEP_2) | instskip(NEXT) | instid1(VALU_DEP_2)
	v_sub_co_u32 v10, vcc_lo, v16, v10
	v_add3_u32 v11, v11, v15, v14
	v_add_co_u32 v15, s0, v12, 2
	s_wait_alu 0xf1ff
	v_add_co_ci_u32_e64 v16, null, 0, v13, s0
	s_delay_alu instid0(VALU_DEP_3) | instskip(SKIP_3) | instid1(VALU_DEP_3)
	v_sub_nc_u32_e32 v14, v17, v11
	v_sub_co_u32 v18, s0, v10, s56
	s_wait_alu 0xfffd
	v_sub_co_ci_u32_e64 v11, null, v17, v11, vcc_lo
	v_subrev_co_ci_u32_e64 v14, null, s57, v14, vcc_lo
	s_delay_alu instid0(VALU_DEP_3) | instskip(SKIP_1) | instid1(VALU_DEP_2)
	v_cmp_le_u32_e32 vcc_lo, s56, v18
	s_wait_alu 0xf1ff
	v_subrev_co_ci_u32_e64 v14, null, 0, v14, s0
	s_wait_alu 0xfffd
	v_cndmask_b32_e64 v17, 0, -1, vcc_lo
	s_delay_alu instid0(VALU_DEP_2)
	v_cmp_le_u32_e32 vcc_lo, s57, v14
	s_wait_alu 0xfffd
	v_cndmask_b32_e64 v18, 0, -1, vcc_lo
	v_cmp_le_u32_e32 vcc_lo, s56, v10
	s_wait_alu 0xfffd
	v_cndmask_b32_e64 v10, 0, -1, vcc_lo
	;; [unrolled: 3-line block ×3, first 2 shown]
	v_cmp_eq_u32_e32 vcc_lo, s57, v14
	s_wait_alu 0xfffd
	v_cndmask_b32_e32 v14, v18, v17, vcc_lo
	v_add_co_u32 v17, vcc_lo, v12, 1
	s_wait_alu 0xfffd
	v_add_co_ci_u32_e64 v18, null, 0, v13, vcc_lo
	v_cmp_eq_u32_e32 vcc_lo, s57, v11
	s_wait_alu 0xfffd
	v_cndmask_b32_e32 v10, v19, v10, vcc_lo
	v_cmp_ne_u32_e32 vcc_lo, 0, v14
	s_wait_alu 0xfffd
	v_cndmask_b32_e32 v11, v18, v16, vcc_lo
	s_delay_alu instid0(VALU_DEP_3) | instskip(SKIP_2) | instid1(VALU_DEP_2)
	v_cmp_ne_u32_e64 s0, 0, v10
	v_cndmask_b32_e32 v10, v17, v15, vcc_lo
	s_wait_alu 0xf1ff
	v_cndmask_b32_e64 v11, v13, v11, s0
	s_delay_alu instid0(VALU_DEP_2) | instskip(NEXT) | instid1(VALU_DEP_2)
	v_cndmask_b32_e64 v10, v12, v10, s0
	v_xor_b32_e32 v11, v11, v3
	s_delay_alu instid0(VALU_DEP_2) | instskip(NEXT) | instid1(VALU_DEP_1)
	v_xor_b32_e32 v10, v10, v3
	v_sub_co_u32 v12, vcc_lo, v10, v3
	s_wait_alu 0xfffd
	s_delay_alu instid0(VALU_DEP_3)
	v_sub_co_ci_u32_e64 v13, null, v11, v3, vcc_lo
                                        ; implicit-def: $vgpr10
	s_and_not1_saveexec_b32 s0, s1
	s_cbranch_execz .LBB27_25
.LBB27_27:                              ;   in Loop: Header=BB27_3 Depth=1
	v_cvt_f32_u32_e32 v3, s20
	s_sub_co_i32 s1, 0, s20
	v_mov_b32_e32 v13, v2
	s_delay_alu instid0(VALU_DEP_2) | instskip(NEXT) | instid1(TRANS32_DEP_1)
	v_rcp_iflag_f32_e32 v3, v3
	v_mul_f32_e32 v3, 0x4f7ffffe, v3
	s_delay_alu instid0(VALU_DEP_1) | instskip(SKIP_1) | instid1(VALU_DEP_1)
	v_cvt_u32_f32_e32 v3, v3
	s_wait_alu 0xfffe
	v_mul_lo_u32 v11, s1, v3
	s_delay_alu instid0(VALU_DEP_1) | instskip(NEXT) | instid1(VALU_DEP_1)
	v_mul_hi_u32 v11, v3, v11
	v_add_nc_u32_e32 v3, v3, v11
	s_delay_alu instid0(VALU_DEP_1) | instskip(NEXT) | instid1(VALU_DEP_1)
	v_mul_hi_u32 v3, v10, v3
	v_mul_lo_u32 v11, v3, s20
	s_delay_alu instid0(VALU_DEP_1) | instskip(SKIP_1) | instid1(VALU_DEP_2)
	v_sub_nc_u32_e32 v10, v10, v11
	v_add_nc_u32_e32 v11, 1, v3
	v_subrev_nc_u32_e32 v12, s20, v10
	v_cmp_le_u32_e32 vcc_lo, s20, v10
	s_wait_alu 0xfffd
	s_delay_alu instid0(VALU_DEP_2) | instskip(NEXT) | instid1(VALU_DEP_1)
	v_dual_cndmask_b32 v10, v10, v12 :: v_dual_cndmask_b32 v3, v3, v11
	v_cmp_le_u32_e32 vcc_lo, s20, v10
	s_delay_alu instid0(VALU_DEP_2) | instskip(SKIP_1) | instid1(VALU_DEP_1)
	v_add_nc_u32_e32 v11, 1, v3
	s_wait_alu 0xfffd
	v_cndmask_b32_e32 v12, v3, v11, vcc_lo
	s_or_b32 exec_lo, exec_lo, s0
	s_delay_alu instid0(SALU_CYCLE_1)
	s_and_not1_b32 vcc_lo, exec_lo, s75
	s_wait_alu 0xfffe
	s_cbranch_vccnz .LBB27_2
.LBB27_28:                              ;   in Loop: Header=BB27_3 Depth=1
	v_add_co_u32 v3, s0, s26, v4
	s_wait_alu 0xf1ff
	v_add_co_ci_u32_e64 v14, null, s27, v5, s0
	v_add_co_u32 v10, vcc_lo, v12, 1
	v_add_co_u32 v12, s0, v6, 1
	s_delay_alu instid0(VALU_DEP_3)
	v_mul_lo_u32 v18, s18, v14
	v_mul_lo_u32 v19, s19, v3
	v_mad_co_u64_u32 v[14:15], null, s18, v3, v[8:9]
	s_wait_alu 0xfffd
	v_add_co_ci_u32_e64 v11, null, 0, v13, vcc_lo
	s_wait_alu 0xf1ff
	v_add_co_ci_u32_e64 v13, null, 0, v7, s0
	s_load_b32 s56, s[28:29], 0x4
	v_cmp_gt_i64_e32 vcc_lo, s[18:19], v[10:11]
	v_add3_u32 v15, v19, v15, v18
	v_cmp_gt_i64_e64 s0, s[16:17], v[12:13]
	v_lshlrev_b64_e32 v[16:17], 1, v[0:1]
	s_mov_b32 s57, s35
	s_mov_b64 s[62:63], s[38:39]
	s_wait_alu 0xfffd
	v_cndmask_b32_e32 v7, s19, v11, vcc_lo
	v_cndmask_b32_e32 v6, s18, v10, vcc_lo
	v_cndmask_b32_e64 v11, s17, v13, s0
	v_cndmask_b32_e64 v10, s16, v12, s0
	v_lshlrev_b64_e32 v[12:13], 3, v[14:15]
	v_lshlrev_b64_e32 v[14:15], 1, v[14:15]
	v_add_co_u32 v3, vcc_lo, s30, v16
	s_wait_alu 0xfffd
	v_add_co_ci_u32_e64 v34, null, s31, v17, vcc_lo
	s_delay_alu instid0(VALU_DEP_4)
	v_add_co_u32 v12, vcc_lo, s6, v12
	s_wait_alu 0xfffd
	v_add_co_ci_u32_e64 v13, null, s7, v13, vcc_lo
	v_add_co_u32 v14, vcc_lo, s4, v14
	v_cmp_lt_i64_e64 s0, v[4:5], v[10:11]
	v_cmp_lt_i64_e64 s1, v[8:9], v[6:7]
	s_wait_alu 0xfffd
	v_add_co_ci_u32_e64 v15, null, s5, v15, vcc_lo
	s_wait_kmcnt 0x0
	s_wait_alu 0xfffe
	s_mul_u64 s[58:59], s[42:43], s[56:57]
	s_mul_u64 s[60:61], s[48:49], s[56:57]
	s_branch .LBB27_30
.LBB27_29:                              ;   in Loop: Header=BB27_30 Depth=2
	s_add_nc_u64 s[62:63], s[62:63], s[56:57]
	v_add_co_u32 v12, vcc_lo, v12, s58
	s_wait_alu 0xfffe
	v_cmp_ge_i64_e64 s2, s[62:63], s[8:9]
	s_wait_alu 0xfffd
	v_add_co_ci_u32_e64 v13, null, s59, v13, vcc_lo
	v_add_co_u32 v14, vcc_lo, v14, s60
	s_wait_alu 0xfffd
	v_add_co_ci_u32_e64 v15, null, s61, v15, vcc_lo
	s_and_b32 vcc_lo, exec_lo, s2
	s_wait_alu 0xfffe
	s_cbranch_vccnz .LBB27_2
.LBB27_30:                              ;   Parent Loop BB27_3 Depth=1
                                        ; =>  This Loop Header: Depth=2
                                        ;       Child Loop BB27_34 Depth 3
                                        ;         Child Loop BB27_38 Depth 4
                                        ;           Child Loop BB27_41 Depth 5
	s_and_not1_b32 vcc_lo, exec_lo, s76
	s_wait_alu 0xfffe
	s_cbranch_vccnz .LBB27_29
; %bb.31:                               ;   in Loop: Header=BB27_30 Depth=2
	s_load_b32 s34, s[28:29], 0x8
	v_dual_mov_b32 v17, v15 :: v_dual_mov_b32 v16, v14
	v_dual_mov_b32 v19, v13 :: v_dual_mov_b32 v18, v12
	s_mul_u64 s[64:65], s[62:63], s[10:11]
	s_mov_b64 s[70:71], s[36:37]
	s_wait_kmcnt 0x0
	s_mul_u64 s[66:67], s[44:45], s[34:35]
	s_mul_u64 s[68:69], s[50:51], s[34:35]
	s_branch .LBB27_34
.LBB27_32:                              ;   in Loop: Header=BB27_34 Depth=3
	s_or_b32 exec_lo, exec_lo, s55
.LBB27_33:                              ;   in Loop: Header=BB27_34 Depth=3
	s_wait_alu 0xfffe
	s_or_b32 exec_lo, exec_lo, s3
	v_bfe_u32 v20, v35, 16, 1
	s_add_nc_u64 s[2:3], s[70:71], s[64:65]
	s_add_nc_u64 s[70:71], s[70:71], s[34:35]
	s_wait_alu 0xfffe
	s_mul_u64 s[2:3], s[12:13], s[2:3]
	v_cmp_ge_i64_e64 s55, s[70:71], s[10:11]
	v_add3_u32 v20, v35, v20, 0x7fff
	s_wait_alu 0xfffe
	s_lshl_b64 s[2:3], s[2:3], 1
	s_delay_alu instid0(VALU_DEP_1)
	v_lshrrev_b32_e32 v22, 16, v20
	s_wait_alu 0xfffe
	v_add_co_u32 v20, vcc_lo, v3, s2
	s_wait_alu 0xfffd
	v_add_co_ci_u32_e64 v21, null, s3, v34, vcc_lo
	v_cmp_o_f32_e32 vcc_lo, v35, v35
	s_wait_alu 0xfffd
	v_cndmask_b32_e32 v22, 0x7fc0, v22, vcc_lo
	v_add_co_u32 v18, vcc_lo, v18, s66
	s_wait_alu 0xfffd
	v_add_co_ci_u32_e64 v19, null, s67, v19, vcc_lo
	v_add_co_u32 v16, vcc_lo, v16, s68
	s_wait_alu 0xfffd
	v_add_co_ci_u32_e64 v17, null, s69, v17, vcc_lo
	s_and_b32 vcc_lo, exec_lo, s55
	global_store_b16 v[20:21], v22, off
	s_wait_alu 0xfffe
	s_cbranch_vccnz .LBB27_29
.LBB27_34:                              ;   Parent Loop BB27_3 Depth=1
                                        ;     Parent Loop BB27_30 Depth=2
                                        ; =>    This Loop Header: Depth=3
                                        ;         Child Loop BB27_38 Depth 4
                                        ;           Child Loop BB27_41 Depth 5
	v_mov_b32_e32 v35, 0
	s_and_saveexec_b32 s3, s0
	s_cbranch_execz .LBB27_33
; %bb.35:                               ;   in Loop: Header=BB27_34 Depth=3
	v_mov_b32_e32 v21, v17
	v_mov_b32_e32 v23, v19
	;; [unrolled: 1-line block ×3, first 2 shown]
	v_dual_mov_b32 v35, 0 :: v_dual_mov_b32 v20, v16
	v_mov_b32_e32 v22, v18
	v_mov_b32_e32 v24, v4
	s_mov_b32 s55, 0
	s_branch .LBB27_38
.LBB27_36:                              ;   in Loop: Header=BB27_38 Depth=4
	s_or_b32 exec_lo, exec_lo, s80
.LBB27_37:                              ;   in Loop: Header=BB27_38 Depth=4
	s_delay_alu instid0(SALU_CYCLE_1)
	s_or_b32 exec_lo, exec_lo, s79
	v_add_co_u32 v24, vcc_lo, v24, 1
	s_wait_alu 0xfffd
	v_add_co_ci_u32_e64 v25, null, 0, v25, vcc_lo
	v_add_co_u32 v22, vcc_lo, v22, s46
	s_wait_alu 0xfffd
	v_add_co_ci_u32_e64 v23, null, s47, v23, vcc_lo
	s_delay_alu instid0(VALU_DEP_3)
	v_cmp_ge_i64_e32 vcc_lo, v[24:25], v[10:11]
	v_add_co_u32 v20, s2, v20, s52
	s_wait_alu 0xf1ff
	v_add_co_ci_u32_e64 v21, null, s53, v21, s2
	s_wait_alu 0xfffe
	s_or_b32 s55, vcc_lo, s55
	s_wait_alu 0xfffe
	s_and_not1_b32 exec_lo, exec_lo, s55
	s_cbranch_execz .LBB27_32
.LBB27_38:                              ;   Parent Loop BB27_3 Depth=1
                                        ;     Parent Loop BB27_30 Depth=2
                                        ;       Parent Loop BB27_34 Depth=3
                                        ; =>      This Loop Header: Depth=4
                                        ;           Child Loop BB27_41 Depth 5
	s_and_saveexec_b32 s79, s1
	s_cbranch_execz .LBB27_37
; %bb.39:                               ;   in Loop: Header=BB27_38 Depth=4
	v_dual_mov_b32 v27, v21 :: v_dual_mov_b32 v26, v20
	v_dual_mov_b32 v29, v23 :: v_dual_mov_b32 v28, v22
	;; [unrolled: 1-line block ×3, first 2 shown]
	s_mov_b32 s80, 0
	s_branch .LBB27_41
.LBB27_40:                              ;   in Loop: Header=BB27_41 Depth=5
	s_wait_alu 0xfffe
	s_or_b32 exec_lo, exec_lo, s2
	v_add_co_u32 v30, vcc_lo, v30, 1
	s_wait_alu 0xfffd
	v_add_co_ci_u32_e64 v31, null, 0, v31, vcc_lo
	v_add_co_u32 v28, vcc_lo, v28, 8
	s_wait_alu 0xfffd
	v_add_co_ci_u32_e64 v29, null, 0, v29, vcc_lo
	s_delay_alu instid0(VALU_DEP_3) | instskip(SKIP_4) | instid1(SALU_CYCLE_1)
	v_cmp_ge_i64_e32 vcc_lo, v[30:31], v[6:7]
	v_add_co_u32 v26, s2, v26, 2
	s_wait_alu 0xf1ff
	v_add_co_ci_u32_e64 v27, null, 0, v27, s2
	s_or_b32 s80, vcc_lo, s80
	s_and_not1_b32 exec_lo, exec_lo, s80
	s_cbranch_execz .LBB27_36
.LBB27_41:                              ;   Parent Loop BB27_3 Depth=1
                                        ;     Parent Loop BB27_30 Depth=2
                                        ;       Parent Loop BB27_34 Depth=3
                                        ;         Parent Loop BB27_38 Depth=4
                                        ; =>        This Inner Loop Header: Depth=5
	global_load_b64 v[36:37], v[28:29], off
	s_mov_b32 s2, exec_lo
	s_wait_loadcnt 0x0
	v_cmpx_eq_u64_e64 v[36:37], v[0:1]
	s_cbranch_execz .LBB27_40
; %bb.42:                               ;   in Loop: Header=BB27_41 Depth=5
	global_load_u16 v36, v[26:27], off
	s_wait_loadcnt 0x0
	v_lshlrev_b32_e32 v36, 16, v36
	s_delay_alu instid0(VALU_DEP_1)
	v_add_f32_e32 v35, v35, v36
	s_branch .LBB27_40
.LBB27_43:
	s_endpgm
	.section	.rodata,"a",@progbits
	.p2align	6, 0x0
	.amdhsa_kernel _ZN2at6native12_GLOBAL__N_122max_pool_backward_nchwIN3c108BFloat16EflEEvPKT_PKlT1_SA_SA_SA_SA_SA_iiiiiiiiPS5_
		.amdhsa_group_segment_fixed_size 0
		.amdhsa_private_segment_fixed_size 0
		.amdhsa_kernarg_size 360
		.amdhsa_user_sgpr_count 2
		.amdhsa_user_sgpr_dispatch_ptr 0
		.amdhsa_user_sgpr_queue_ptr 0
		.amdhsa_user_sgpr_kernarg_segment_ptr 1
		.amdhsa_user_sgpr_dispatch_id 0
		.amdhsa_user_sgpr_private_segment_size 0
		.amdhsa_wavefront_size32 1
		.amdhsa_uses_dynamic_stack 0
		.amdhsa_enable_private_segment 0
		.amdhsa_system_sgpr_workgroup_id_x 1
		.amdhsa_system_sgpr_workgroup_id_y 1
		.amdhsa_system_sgpr_workgroup_id_z 1
		.amdhsa_system_sgpr_workgroup_info 0
		.amdhsa_system_vgpr_workitem_id 0
		.amdhsa_next_free_vgpr 38
		.amdhsa_next_free_sgpr 81
		.amdhsa_reserve_vcc 1
		.amdhsa_float_round_mode_32 0
		.amdhsa_float_round_mode_16_64 0
		.amdhsa_float_denorm_mode_32 3
		.amdhsa_float_denorm_mode_16_64 3
		.amdhsa_fp16_overflow 0
		.amdhsa_workgroup_processor_mode 1
		.amdhsa_memory_ordered 1
		.amdhsa_forward_progress 1
		.amdhsa_inst_pref_size 51
		.amdhsa_round_robin_scheduling 0
		.amdhsa_exception_fp_ieee_invalid_op 0
		.amdhsa_exception_fp_denorm_src 0
		.amdhsa_exception_fp_ieee_div_zero 0
		.amdhsa_exception_fp_ieee_overflow 0
		.amdhsa_exception_fp_ieee_underflow 0
		.amdhsa_exception_fp_ieee_inexact 0
		.amdhsa_exception_int_div_zero 0
	.end_amdhsa_kernel
	.section	.text._ZN2at6native12_GLOBAL__N_122max_pool_backward_nchwIN3c108BFloat16EflEEvPKT_PKlT1_SA_SA_SA_SA_SA_iiiiiiiiPS5_,"axG",@progbits,_ZN2at6native12_GLOBAL__N_122max_pool_backward_nchwIN3c108BFloat16EflEEvPKT_PKlT1_SA_SA_SA_SA_SA_iiiiiiiiPS5_,comdat
.Lfunc_end27:
	.size	_ZN2at6native12_GLOBAL__N_122max_pool_backward_nchwIN3c108BFloat16EflEEvPKT_PKlT1_SA_SA_SA_SA_SA_iiiiiiiiPS5_, .Lfunc_end27-_ZN2at6native12_GLOBAL__N_122max_pool_backward_nchwIN3c108BFloat16EflEEvPKT_PKlT1_SA_SA_SA_SA_SA_iiiiiiiiPS5_
                                        ; -- End function
	.set _ZN2at6native12_GLOBAL__N_122max_pool_backward_nchwIN3c108BFloat16EflEEvPKT_PKlT1_SA_SA_SA_SA_SA_iiiiiiiiPS5_.num_vgpr, 38
	.set _ZN2at6native12_GLOBAL__N_122max_pool_backward_nchwIN3c108BFloat16EflEEvPKT_PKlT1_SA_SA_SA_SA_SA_iiiiiiiiPS5_.num_agpr, 0
	.set _ZN2at6native12_GLOBAL__N_122max_pool_backward_nchwIN3c108BFloat16EflEEvPKT_PKlT1_SA_SA_SA_SA_SA_iiiiiiiiPS5_.numbered_sgpr, 81
	.set _ZN2at6native12_GLOBAL__N_122max_pool_backward_nchwIN3c108BFloat16EflEEvPKT_PKlT1_SA_SA_SA_SA_SA_iiiiiiiiPS5_.num_named_barrier, 0
	.set _ZN2at6native12_GLOBAL__N_122max_pool_backward_nchwIN3c108BFloat16EflEEvPKT_PKlT1_SA_SA_SA_SA_SA_iiiiiiiiPS5_.private_seg_size, 0
	.set _ZN2at6native12_GLOBAL__N_122max_pool_backward_nchwIN3c108BFloat16EflEEvPKT_PKlT1_SA_SA_SA_SA_SA_iiiiiiiiPS5_.uses_vcc, 1
	.set _ZN2at6native12_GLOBAL__N_122max_pool_backward_nchwIN3c108BFloat16EflEEvPKT_PKlT1_SA_SA_SA_SA_SA_iiiiiiiiPS5_.uses_flat_scratch, 0
	.set _ZN2at6native12_GLOBAL__N_122max_pool_backward_nchwIN3c108BFloat16EflEEvPKT_PKlT1_SA_SA_SA_SA_SA_iiiiiiiiPS5_.has_dyn_sized_stack, 0
	.set _ZN2at6native12_GLOBAL__N_122max_pool_backward_nchwIN3c108BFloat16EflEEvPKT_PKlT1_SA_SA_SA_SA_SA_iiiiiiiiPS5_.has_recursion, 0
	.set _ZN2at6native12_GLOBAL__N_122max_pool_backward_nchwIN3c108BFloat16EflEEvPKT_PKlT1_SA_SA_SA_SA_SA_iiiiiiiiPS5_.has_indirect_call, 0
	.section	.AMDGPU.csdata,"",@progbits
; Kernel info:
; codeLenInByte = 6412
; TotalNumSgprs: 83
; NumVgprs: 38
; ScratchSize: 0
; MemoryBound: 0
; FloatMode: 240
; IeeeMode: 1
; LDSByteSize: 0 bytes/workgroup (compile time only)
; SGPRBlocks: 0
; VGPRBlocks: 4
; NumSGPRsForWavesPerEU: 83
; NumVGPRsForWavesPerEU: 38
; Occupancy: 16
; WaveLimiterHint : 0
; COMPUTE_PGM_RSRC2:SCRATCH_EN: 0
; COMPUTE_PGM_RSRC2:USER_SGPR: 2
; COMPUTE_PGM_RSRC2:TRAP_HANDLER: 0
; COMPUTE_PGM_RSRC2:TGID_X_EN: 1
; COMPUTE_PGM_RSRC2:TGID_Y_EN: 1
; COMPUTE_PGM_RSRC2:TGID_Z_EN: 1
; COMPUTE_PGM_RSRC2:TIDIG_COMP_CNT: 0
	.section	.AMDGPU.gpr_maximums,"",@progbits
	.set amdgpu.max_num_vgpr, 0
	.set amdgpu.max_num_agpr, 0
	.set amdgpu.max_num_sgpr, 0
	.section	.AMDGPU.csdata,"",@progbits
	.type	__hip_cuid_aa6af7c41e459d26,@object ; @__hip_cuid_aa6af7c41e459d26
	.section	.bss,"aw",@nobits
	.globl	__hip_cuid_aa6af7c41e459d26
__hip_cuid_aa6af7c41e459d26:
	.byte	0                               ; 0x0
	.size	__hip_cuid_aa6af7c41e459d26, 1

	.ident	"AMD clang version 22.0.0git (https://github.com/RadeonOpenCompute/llvm-project roc-7.2.4 26084 f58b06dce1f9c15707c5f808fd002e18c2accf7e)"
	.section	".note.GNU-stack","",@progbits
	.addrsig
	.addrsig_sym __hip_cuid_aa6af7c41e459d26
	.amdgpu_metadata
---
amdhsa.kernels:
  - .args:
      - .address_space:  global
        .offset:         0
        .size:           8
        .value_kind:     global_buffer
      - .offset:         8
        .size:           4
        .value_kind:     by_value
      - .offset:         12
        .size:           4
        .value_kind:     by_value
      - .offset:         16
        .size:           4
        .value_kind:     by_value
      - .offset:         20
        .size:           4
        .value_kind:     by_value
      - .offset:         24
        .size:           4
        .value_kind:     by_value
      - .offset:         28
        .size:           4
        .value_kind:     by_value
      - .offset:         32
        .size:           4
        .value_kind:     by_value
      - .offset:         36
        .size:           4
        .value_kind:     by_value
      - .offset:         40
        .size:           4
        .value_kind:     by_value
      - .offset:         44
        .size:           4
        .value_kind:     by_value
      - .offset:         48
        .size:           4
        .value_kind:     by_value
      - .offset:         52
        .size:           4
        .value_kind:     by_value
      - .offset:         56
        .size:           4
        .value_kind:     by_value
      - .offset:         60
        .size:           4
        .value_kind:     by_value
      - .offset:         64
        .size:           4
        .value_kind:     by_value
      - .offset:         68
        .size:           4
        .value_kind:     by_value
      - .offset:         72
        .size:           4
        .value_kind:     by_value
      - .offset:         76
        .size:           4
        .value_kind:     by_value
      - .offset:         80
        .size:           4
        .value_kind:     by_value
      - .offset:         84
        .size:           4
        .value_kind:     by_value
      - .address_space:  global
        .offset:         88
        .size:           8
        .value_kind:     global_buffer
      - .address_space:  global
        .offset:         96
        .size:           8
        .value_kind:     global_buffer
      - .offset:         104
        .size:           4
        .value_kind:     hidden_block_count_x
      - .offset:         108
        .size:           4
        .value_kind:     hidden_block_count_y
      - .offset:         112
        .size:           4
        .value_kind:     hidden_block_count_z
      - .offset:         116
        .size:           2
        .value_kind:     hidden_group_size_x
      - .offset:         118
        .size:           2
        .value_kind:     hidden_group_size_y
      - .offset:         120
        .size:           2
        .value_kind:     hidden_group_size_z
      - .offset:         122
        .size:           2
        .value_kind:     hidden_remainder_x
      - .offset:         124
        .size:           2
        .value_kind:     hidden_remainder_y
      - .offset:         126
        .size:           2
        .value_kind:     hidden_remainder_z
      - .offset:         144
        .size:           8
        .value_kind:     hidden_global_offset_x
      - .offset:         152
        .size:           8
        .value_kind:     hidden_global_offset_y
      - .offset:         160
        .size:           8
        .value_kind:     hidden_global_offset_z
      - .offset:         168
        .size:           2
        .value_kind:     hidden_grid_dims
      - .offset:         224
        .size:           4
        .value_kind:     hidden_dynamic_lds_size
    .group_segment_fixed_size: 0
    .kernarg_segment_align: 8
    .kernarg_segment_size: 360
    .language:       OpenCL C
    .language_version:
      - 2
      - 0
    .max_flat_workgroup_size: 256
    .name:           _ZN2at6native12_GLOBAL__N_121max_pool_forward_nhwcIdiEEvPKT_iT0_S6_S6_S6_S6_iiiiiiiiS6_S6_S6_S6_iiPS3_Pl
    .private_segment_fixed_size: 0
    .sgpr_count:     52
    .sgpr_spill_count: 0
    .symbol:         _ZN2at6native12_GLOBAL__N_121max_pool_forward_nhwcIdiEEvPKT_iT0_S6_S6_S6_S6_iiiiiiiiS6_S6_S6_S6_iiPS3_Pl.kd
    .uniform_work_group_size: 1
    .uses_dynamic_stack: false
    .vgpr_count:     51
    .vgpr_spill_count: 0
    .wavefront_size: 32
    .workgroup_processor_mode: 1
  - .args:
      - .address_space:  global
        .offset:         0
        .size:           8
        .value_kind:     global_buffer
      - .offset:         8
        .size:           4
        .value_kind:     by_value
      - .offset:         16
        .size:           8
        .value_kind:     by_value
      - .offset:         24
        .size:           8
        .value_kind:     by_value
      - .offset:         32
        .size:           8
        .value_kind:     by_value
      - .offset:         40
        .size:           8
        .value_kind:     by_value
      - .offset:         48
        .size:           8
        .value_kind:     by_value
      - .offset:         56
        .size:           4
        .value_kind:     by_value
      - .offset:         60
        .size:           4
        .value_kind:     by_value
      - .offset:         64
        .size:           4
        .value_kind:     by_value
      - .offset:         68
        .size:           4
        .value_kind:     by_value
      - .offset:         72
        .size:           4
        .value_kind:     by_value
      - .offset:         76
        .size:           4
        .value_kind:     by_value
      - .offset:         80
        .size:           4
        .value_kind:     by_value
      - .offset:         84
        .size:           4
        .value_kind:     by_value
      - .offset:         88
        .size:           8
        .value_kind:     by_value
      - .offset:         96
        .size:           8
        .value_kind:     by_value
      - .offset:         104
        .size:           8
        .value_kind:     by_value
      - .offset:         112
        .size:           8
        .value_kind:     by_value
      - .offset:         120
        .size:           4
        .value_kind:     by_value
      - .offset:         124
        .size:           4
        .value_kind:     by_value
      - .address_space:  global
        .offset:         128
        .size:           8
        .value_kind:     global_buffer
      - .address_space:  global
        .offset:         136
        .size:           8
        .value_kind:     global_buffer
      - .offset:         144
        .size:           4
        .value_kind:     hidden_block_count_x
      - .offset:         148
        .size:           4
        .value_kind:     hidden_block_count_y
      - .offset:         152
        .size:           4
        .value_kind:     hidden_block_count_z
      - .offset:         156
        .size:           2
        .value_kind:     hidden_group_size_x
      - .offset:         158
        .size:           2
        .value_kind:     hidden_group_size_y
      - .offset:         160
        .size:           2
        .value_kind:     hidden_group_size_z
      - .offset:         162
        .size:           2
        .value_kind:     hidden_remainder_x
      - .offset:         164
        .size:           2
        .value_kind:     hidden_remainder_y
      - .offset:         166
        .size:           2
        .value_kind:     hidden_remainder_z
      - .offset:         184
        .size:           8
        .value_kind:     hidden_global_offset_x
      - .offset:         192
        .size:           8
        .value_kind:     hidden_global_offset_y
      - .offset:         200
        .size:           8
        .value_kind:     hidden_global_offset_z
      - .offset:         208
        .size:           2
        .value_kind:     hidden_grid_dims
      - .offset:         264
        .size:           4
        .value_kind:     hidden_dynamic_lds_size
    .group_segment_fixed_size: 0
    .kernarg_segment_align: 8
    .kernarg_segment_size: 400
    .language:       OpenCL C
    .language_version:
      - 2
      - 0
    .max_flat_workgroup_size: 256
    .name:           _ZN2at6native12_GLOBAL__N_121max_pool_forward_nhwcIdlEEvPKT_iT0_S6_S6_S6_S6_iiiiiiiiS6_S6_S6_S6_iiPS3_Pl
    .private_segment_fixed_size: 0
    .sgpr_count:     73
    .sgpr_spill_count: 0
    .symbol:         _ZN2at6native12_GLOBAL__N_121max_pool_forward_nhwcIdlEEvPKT_iT0_S6_S6_S6_S6_iiiiiiiiS6_S6_S6_S6_iiPS3_Pl.kd
    .uniform_work_group_size: 1
    .uses_dynamic_stack: false
    .vgpr_count:     68
    .vgpr_spill_count: 0
    .wavefront_size: 32
    .workgroup_processor_mode: 1
  - .args:
      - .offset:         0
        .size:           4
        .value_kind:     by_value
      - .address_space:  global
        .offset:         8
        .size:           8
        .value_kind:     global_buffer
      - .offset:         16
        .size:           8
        .value_kind:     by_value
      - .offset:         24
        .size:           8
        .value_kind:     by_value
      - .offset:         32
        .size:           8
        .value_kind:     by_value
      - .offset:         40
        .size:           4
        .value_kind:     by_value
      - .offset:         44
        .size:           4
        .value_kind:     by_value
      - .offset:         48
        .size:           4
        .value_kind:     by_value
      - .offset:         52
        .size:           4
        .value_kind:     by_value
      - .offset:         56
        .size:           4
        .value_kind:     by_value
      - .offset:         60
        .size:           4
        .value_kind:     by_value
      - .offset:         64
        .size:           4
        .value_kind:     by_value
      - .offset:         68
        .size:           4
        .value_kind:     by_value
      - .offset:         72
        .size:           4
        .value_kind:     by_value
      - .offset:         76
        .size:           4
        .value_kind:     by_value
      - .address_space:  global
        .offset:         80
        .size:           8
        .value_kind:     global_buffer
      - .address_space:  global
        .offset:         88
        .size:           8
        .value_kind:     global_buffer
      - .offset:         96
        .size:           4
        .value_kind:     hidden_block_count_x
      - .offset:         100
        .size:           4
        .value_kind:     hidden_block_count_y
      - .offset:         104
        .size:           4
        .value_kind:     hidden_block_count_z
      - .offset:         108
        .size:           2
        .value_kind:     hidden_group_size_x
      - .offset:         110
        .size:           2
        .value_kind:     hidden_group_size_y
      - .offset:         112
        .size:           2
        .value_kind:     hidden_group_size_z
      - .offset:         114
        .size:           2
        .value_kind:     hidden_remainder_x
      - .offset:         116
        .size:           2
        .value_kind:     hidden_remainder_y
      - .offset:         118
        .size:           2
        .value_kind:     hidden_remainder_z
      - .offset:         136
        .size:           8
        .value_kind:     hidden_global_offset_x
      - .offset:         144
        .size:           8
        .value_kind:     hidden_global_offset_y
      - .offset:         152
        .size:           8
        .value_kind:     hidden_global_offset_z
      - .offset:         160
        .size:           2
        .value_kind:     hidden_grid_dims
    .group_segment_fixed_size: 0
    .kernarg_segment_align: 8
    .kernarg_segment_size: 352
    .language:       OpenCL C
    .language_version:
      - 2
      - 0
    .max_flat_workgroup_size: 1024
    .name:           _ZN2at6native12_GLOBAL__N_121max_pool_forward_nchwIdiEEvT0_PKT_llliiiiiiiiiiPS4_Pl
    .private_segment_fixed_size: 0
    .sgpr_count:     51
    .sgpr_spill_count: 0
    .symbol:         _ZN2at6native12_GLOBAL__N_121max_pool_forward_nchwIdiEEvT0_PKT_llliiiiiiiiiiPS4_Pl.kd
    .uniform_work_group_size: 1
    .uses_dynamic_stack: false
    .vgpr_count:     18
    .vgpr_spill_count: 0
    .wavefront_size: 32
    .workgroup_processor_mode: 1
  - .args:
      - .offset:         0
        .size:           8
        .value_kind:     by_value
      - .address_space:  global
        .offset:         8
        .size:           8
        .value_kind:     global_buffer
      - .offset:         16
        .size:           8
        .value_kind:     by_value
      - .offset:         24
        .size:           8
        .value_kind:     by_value
      - .offset:         32
        .size:           8
        .value_kind:     by_value
      - .offset:         40
        .size:           4
        .value_kind:     by_value
      - .offset:         44
        .size:           4
        .value_kind:     by_value
      - .offset:         48
        .size:           4
        .value_kind:     by_value
      - .offset:         52
        .size:           4
        .value_kind:     by_value
      - .offset:         56
        .size:           4
        .value_kind:     by_value
      - .offset:         60
        .size:           4
        .value_kind:     by_value
      - .offset:         64
        .size:           4
        .value_kind:     by_value
      - .offset:         68
        .size:           4
        .value_kind:     by_value
      - .offset:         72
        .size:           4
        .value_kind:     by_value
      - .offset:         76
        .size:           4
        .value_kind:     by_value
      - .address_space:  global
        .offset:         80
        .size:           8
        .value_kind:     global_buffer
      - .address_space:  global
        .offset:         88
        .size:           8
        .value_kind:     global_buffer
      - .offset:         96
        .size:           4
        .value_kind:     hidden_block_count_x
      - .offset:         100
        .size:           4
        .value_kind:     hidden_block_count_y
      - .offset:         104
        .size:           4
        .value_kind:     hidden_block_count_z
      - .offset:         108
        .size:           2
        .value_kind:     hidden_group_size_x
      - .offset:         110
        .size:           2
        .value_kind:     hidden_group_size_y
      - .offset:         112
        .size:           2
        .value_kind:     hidden_group_size_z
      - .offset:         114
        .size:           2
        .value_kind:     hidden_remainder_x
      - .offset:         116
        .size:           2
        .value_kind:     hidden_remainder_y
      - .offset:         118
        .size:           2
        .value_kind:     hidden_remainder_z
      - .offset:         136
        .size:           8
        .value_kind:     hidden_global_offset_x
      - .offset:         144
        .size:           8
        .value_kind:     hidden_global_offset_y
      - .offset:         152
        .size:           8
        .value_kind:     hidden_global_offset_z
      - .offset:         160
        .size:           2
        .value_kind:     hidden_grid_dims
    .group_segment_fixed_size: 0
    .kernarg_segment_align: 8
    .kernarg_segment_size: 352
    .language:       OpenCL C
    .language_version:
      - 2
      - 0
    .max_flat_workgroup_size: 1024
    .name:           _ZN2at6native12_GLOBAL__N_121max_pool_forward_nchwIdlEEvT0_PKT_llliiiiiiiiiiPS4_Pl
    .private_segment_fixed_size: 0
    .sgpr_count:     62
    .sgpr_spill_count: 0
    .symbol:         _ZN2at6native12_GLOBAL__N_121max_pool_forward_nchwIdlEEvT0_PKT_llliiiiiiiiiiPS4_Pl.kd
    .uniform_work_group_size: 1
    .uses_dynamic_stack: false
    .vgpr_count:     25
    .vgpr_spill_count: 0
    .wavefront_size: 32
    .workgroup_processor_mode: 1
  - .args:
      - .address_space:  global
        .offset:         0
        .size:           8
        .value_kind:     global_buffer
      - .offset:         8
        .size:           4
        .value_kind:     by_value
      - .offset:         12
        .size:           4
        .value_kind:     by_value
      - .offset:         16
        .size:           4
        .value_kind:     by_value
      - .offset:         20
        .size:           4
        .value_kind:     by_value
      - .offset:         24
        .size:           4
        .value_kind:     by_value
      - .offset:         28
        .size:           4
        .value_kind:     by_value
      - .offset:         32
        .size:           4
        .value_kind:     by_value
      - .offset:         36
        .size:           4
        .value_kind:     by_value
      - .offset:         40
        .size:           4
        .value_kind:     by_value
      - .offset:         44
        .size:           4
        .value_kind:     by_value
      - .offset:         48
        .size:           4
        .value_kind:     by_value
      - .offset:         52
        .size:           4
        .value_kind:     by_value
      - .offset:         56
        .size:           4
        .value_kind:     by_value
      - .offset:         60
        .size:           4
        .value_kind:     by_value
      - .offset:         64
        .size:           4
        .value_kind:     by_value
      - .offset:         68
        .size:           4
        .value_kind:     by_value
      - .offset:         72
        .size:           4
        .value_kind:     by_value
      - .offset:         76
        .size:           4
        .value_kind:     by_value
      - .offset:         80
        .size:           4
        .value_kind:     by_value
      - .offset:         84
        .size:           4
        .value_kind:     by_value
      - .address_space:  global
        .offset:         88
        .size:           8
        .value_kind:     global_buffer
      - .address_space:  global
        .offset:         96
        .size:           8
        .value_kind:     global_buffer
      - .offset:         104
        .size:           4
        .value_kind:     hidden_block_count_x
      - .offset:         108
        .size:           4
        .value_kind:     hidden_block_count_y
      - .offset:         112
        .size:           4
        .value_kind:     hidden_block_count_z
      - .offset:         116
        .size:           2
        .value_kind:     hidden_group_size_x
      - .offset:         118
        .size:           2
        .value_kind:     hidden_group_size_y
      - .offset:         120
        .size:           2
        .value_kind:     hidden_group_size_z
      - .offset:         122
        .size:           2
        .value_kind:     hidden_remainder_x
      - .offset:         124
        .size:           2
        .value_kind:     hidden_remainder_y
      - .offset:         126
        .size:           2
        .value_kind:     hidden_remainder_z
      - .offset:         144
        .size:           8
        .value_kind:     hidden_global_offset_x
      - .offset:         152
        .size:           8
        .value_kind:     hidden_global_offset_y
      - .offset:         160
        .size:           8
        .value_kind:     hidden_global_offset_z
      - .offset:         168
        .size:           2
        .value_kind:     hidden_grid_dims
      - .offset:         224
        .size:           4
        .value_kind:     hidden_dynamic_lds_size
    .group_segment_fixed_size: 0
    .kernarg_segment_align: 8
    .kernarg_segment_size: 360
    .language:       OpenCL C
    .language_version:
      - 2
      - 0
    .max_flat_workgroup_size: 256
    .name:           _ZN2at6native12_GLOBAL__N_121max_pool_forward_nhwcIfiEEvPKT_iT0_S6_S6_S6_S6_iiiiiiiiS6_S6_S6_S6_iiPS3_Pl
    .private_segment_fixed_size: 0
    .sgpr_count:     49
    .sgpr_spill_count: 0
    .symbol:         _ZN2at6native12_GLOBAL__N_121max_pool_forward_nhwcIfiEEvPKT_iT0_S6_S6_S6_S6_iiiiiiiiS6_S6_S6_S6_iiPS3_Pl.kd
    .uniform_work_group_size: 1
    .uses_dynamic_stack: false
    .vgpr_count:     46
    .vgpr_spill_count: 0
    .wavefront_size: 32
    .workgroup_processor_mode: 1
  - .args:
      - .address_space:  global
        .offset:         0
        .size:           8
        .value_kind:     global_buffer
      - .offset:         8
        .size:           4
        .value_kind:     by_value
      - .offset:         16
        .size:           8
        .value_kind:     by_value
      - .offset:         24
        .size:           8
        .value_kind:     by_value
      - .offset:         32
        .size:           8
        .value_kind:     by_value
      - .offset:         40
        .size:           8
        .value_kind:     by_value
      - .offset:         48
        .size:           8
        .value_kind:     by_value
      - .offset:         56
        .size:           4
        .value_kind:     by_value
      - .offset:         60
        .size:           4
        .value_kind:     by_value
      - .offset:         64
        .size:           4
        .value_kind:     by_value
      - .offset:         68
        .size:           4
        .value_kind:     by_value
      - .offset:         72
        .size:           4
        .value_kind:     by_value
      - .offset:         76
        .size:           4
        .value_kind:     by_value
      - .offset:         80
        .size:           4
        .value_kind:     by_value
      - .offset:         84
        .size:           4
        .value_kind:     by_value
      - .offset:         88
        .size:           8
        .value_kind:     by_value
      - .offset:         96
        .size:           8
        .value_kind:     by_value
      - .offset:         104
        .size:           8
        .value_kind:     by_value
      - .offset:         112
        .size:           8
        .value_kind:     by_value
      - .offset:         120
        .size:           4
        .value_kind:     by_value
      - .offset:         124
        .size:           4
        .value_kind:     by_value
      - .address_space:  global
        .offset:         128
        .size:           8
        .value_kind:     global_buffer
      - .address_space:  global
        .offset:         136
        .size:           8
        .value_kind:     global_buffer
      - .offset:         144
        .size:           4
        .value_kind:     hidden_block_count_x
      - .offset:         148
        .size:           4
        .value_kind:     hidden_block_count_y
      - .offset:         152
        .size:           4
        .value_kind:     hidden_block_count_z
      - .offset:         156
        .size:           2
        .value_kind:     hidden_group_size_x
      - .offset:         158
        .size:           2
        .value_kind:     hidden_group_size_y
      - .offset:         160
        .size:           2
        .value_kind:     hidden_group_size_z
      - .offset:         162
        .size:           2
        .value_kind:     hidden_remainder_x
      - .offset:         164
        .size:           2
        .value_kind:     hidden_remainder_y
      - .offset:         166
        .size:           2
        .value_kind:     hidden_remainder_z
      - .offset:         184
        .size:           8
        .value_kind:     hidden_global_offset_x
      - .offset:         192
        .size:           8
        .value_kind:     hidden_global_offset_y
      - .offset:         200
        .size:           8
        .value_kind:     hidden_global_offset_z
      - .offset:         208
        .size:           2
        .value_kind:     hidden_grid_dims
      - .offset:         264
        .size:           4
        .value_kind:     hidden_dynamic_lds_size
    .group_segment_fixed_size: 0
    .kernarg_segment_align: 8
    .kernarg_segment_size: 400
    .language:       OpenCL C
    .language_version:
      - 2
      - 0
    .max_flat_workgroup_size: 256
    .name:           _ZN2at6native12_GLOBAL__N_121max_pool_forward_nhwcIflEEvPKT_iT0_S6_S6_S6_S6_iiiiiiiiS6_S6_S6_S6_iiPS3_Pl
    .private_segment_fixed_size: 0
    .sgpr_count:     74
    .sgpr_spill_count: 0
    .symbol:         _ZN2at6native12_GLOBAL__N_121max_pool_forward_nhwcIflEEvPKT_iT0_S6_S6_S6_S6_iiiiiiiiS6_S6_S6_S6_iiPS3_Pl.kd
    .uniform_work_group_size: 1
    .uses_dynamic_stack: false
    .vgpr_count:     62
    .vgpr_spill_count: 0
    .wavefront_size: 32
    .workgroup_processor_mode: 1
  - .args:
      - .offset:         0
        .size:           4
        .value_kind:     by_value
      - .address_space:  global
        .offset:         8
        .size:           8
        .value_kind:     global_buffer
      - .offset:         16
        .size:           8
        .value_kind:     by_value
      - .offset:         24
        .size:           8
        .value_kind:     by_value
      - .offset:         32
        .size:           8
        .value_kind:     by_value
      - .offset:         40
        .size:           4
        .value_kind:     by_value
      - .offset:         44
        .size:           4
        .value_kind:     by_value
      - .offset:         48
        .size:           4
        .value_kind:     by_value
      - .offset:         52
        .size:           4
        .value_kind:     by_value
      - .offset:         56
        .size:           4
        .value_kind:     by_value
      - .offset:         60
        .size:           4
        .value_kind:     by_value
      - .offset:         64
        .size:           4
        .value_kind:     by_value
      - .offset:         68
        .size:           4
        .value_kind:     by_value
      - .offset:         72
        .size:           4
        .value_kind:     by_value
      - .offset:         76
        .size:           4
        .value_kind:     by_value
      - .address_space:  global
        .offset:         80
        .size:           8
        .value_kind:     global_buffer
      - .address_space:  global
        .offset:         88
        .size:           8
        .value_kind:     global_buffer
      - .offset:         96
        .size:           4
        .value_kind:     hidden_block_count_x
      - .offset:         100
        .size:           4
        .value_kind:     hidden_block_count_y
      - .offset:         104
        .size:           4
        .value_kind:     hidden_block_count_z
      - .offset:         108
        .size:           2
        .value_kind:     hidden_group_size_x
      - .offset:         110
        .size:           2
        .value_kind:     hidden_group_size_y
      - .offset:         112
        .size:           2
        .value_kind:     hidden_group_size_z
      - .offset:         114
        .size:           2
        .value_kind:     hidden_remainder_x
      - .offset:         116
        .size:           2
        .value_kind:     hidden_remainder_y
      - .offset:         118
        .size:           2
        .value_kind:     hidden_remainder_z
      - .offset:         136
        .size:           8
        .value_kind:     hidden_global_offset_x
      - .offset:         144
        .size:           8
        .value_kind:     hidden_global_offset_y
      - .offset:         152
        .size:           8
        .value_kind:     hidden_global_offset_z
      - .offset:         160
        .size:           2
        .value_kind:     hidden_grid_dims
    .group_segment_fixed_size: 0
    .kernarg_segment_align: 8
    .kernarg_segment_size: 352
    .language:       OpenCL C
    .language_version:
      - 2
      - 0
    .max_flat_workgroup_size: 1024
    .name:           _ZN2at6native12_GLOBAL__N_121max_pool_forward_nchwIfiEEvT0_PKT_llliiiiiiiiiiPS4_Pl
    .private_segment_fixed_size: 0
    .sgpr_count:     51
    .sgpr_spill_count: 0
    .symbol:         _ZN2at6native12_GLOBAL__N_121max_pool_forward_nchwIfiEEvT0_PKT_llliiiiiiiiiiPS4_Pl.kd
    .uniform_work_group_size: 1
    .uses_dynamic_stack: false
    .vgpr_count:     16
    .vgpr_spill_count: 0
    .wavefront_size: 32
    .workgroup_processor_mode: 1
  - .args:
      - .offset:         0
        .size:           8
        .value_kind:     by_value
      - .address_space:  global
        .offset:         8
        .size:           8
        .value_kind:     global_buffer
      - .offset:         16
        .size:           8
        .value_kind:     by_value
      - .offset:         24
        .size:           8
        .value_kind:     by_value
      - .offset:         32
        .size:           8
        .value_kind:     by_value
      - .offset:         40
        .size:           4
        .value_kind:     by_value
      - .offset:         44
        .size:           4
        .value_kind:     by_value
      - .offset:         48
        .size:           4
        .value_kind:     by_value
      - .offset:         52
        .size:           4
        .value_kind:     by_value
      - .offset:         56
        .size:           4
        .value_kind:     by_value
      - .offset:         60
        .size:           4
        .value_kind:     by_value
      - .offset:         64
        .size:           4
        .value_kind:     by_value
      - .offset:         68
        .size:           4
        .value_kind:     by_value
      - .offset:         72
        .size:           4
        .value_kind:     by_value
      - .offset:         76
        .size:           4
        .value_kind:     by_value
      - .address_space:  global
        .offset:         80
        .size:           8
        .value_kind:     global_buffer
      - .address_space:  global
        .offset:         88
        .size:           8
        .value_kind:     global_buffer
      - .offset:         96
        .size:           4
        .value_kind:     hidden_block_count_x
      - .offset:         100
        .size:           4
        .value_kind:     hidden_block_count_y
      - .offset:         104
        .size:           4
        .value_kind:     hidden_block_count_z
      - .offset:         108
        .size:           2
        .value_kind:     hidden_group_size_x
      - .offset:         110
        .size:           2
        .value_kind:     hidden_group_size_y
      - .offset:         112
        .size:           2
        .value_kind:     hidden_group_size_z
      - .offset:         114
        .size:           2
        .value_kind:     hidden_remainder_x
      - .offset:         116
        .size:           2
        .value_kind:     hidden_remainder_y
      - .offset:         118
        .size:           2
        .value_kind:     hidden_remainder_z
      - .offset:         136
        .size:           8
        .value_kind:     hidden_global_offset_x
      - .offset:         144
        .size:           8
        .value_kind:     hidden_global_offset_y
      - .offset:         152
        .size:           8
        .value_kind:     hidden_global_offset_z
      - .offset:         160
        .size:           2
        .value_kind:     hidden_grid_dims
    .group_segment_fixed_size: 0
    .kernarg_segment_align: 8
    .kernarg_segment_size: 352
    .language:       OpenCL C
    .language_version:
      - 2
      - 0
    .max_flat_workgroup_size: 1024
    .name:           _ZN2at6native12_GLOBAL__N_121max_pool_forward_nchwIflEEvT0_PKT_llliiiiiiiiiiPS4_Pl
    .private_segment_fixed_size: 0
    .sgpr_count:     62
    .sgpr_spill_count: 0
    .symbol:         _ZN2at6native12_GLOBAL__N_121max_pool_forward_nchwIflEEvT0_PKT_llliiiiiiiiiiPS4_Pl.kd
    .uniform_work_group_size: 1
    .uses_dynamic_stack: false
    .vgpr_count:     25
    .vgpr_spill_count: 0
    .wavefront_size: 32
    .workgroup_processor_mode: 1
  - .args:
      - .address_space:  global
        .offset:         0
        .size:           8
        .value_kind:     global_buffer
      - .offset:         8
        .size:           4
        .value_kind:     by_value
      - .offset:         12
        .size:           4
        .value_kind:     by_value
      - .offset:         16
        .size:           4
        .value_kind:     by_value
      - .offset:         20
        .size:           4
        .value_kind:     by_value
      - .offset:         24
        .size:           4
        .value_kind:     by_value
      - .offset:         28
        .size:           4
        .value_kind:     by_value
      - .offset:         32
        .size:           4
        .value_kind:     by_value
      - .offset:         36
        .size:           4
        .value_kind:     by_value
      - .offset:         40
        .size:           4
        .value_kind:     by_value
      - .offset:         44
        .size:           4
        .value_kind:     by_value
      - .offset:         48
        .size:           4
        .value_kind:     by_value
      - .offset:         52
        .size:           4
        .value_kind:     by_value
      - .offset:         56
        .size:           4
        .value_kind:     by_value
      - .offset:         60
        .size:           4
        .value_kind:     by_value
      - .offset:         64
        .size:           4
        .value_kind:     by_value
      - .offset:         68
        .size:           4
        .value_kind:     by_value
      - .offset:         72
        .size:           4
        .value_kind:     by_value
      - .offset:         76
        .size:           4
        .value_kind:     by_value
      - .offset:         80
        .size:           4
        .value_kind:     by_value
      - .offset:         84
        .size:           4
        .value_kind:     by_value
      - .address_space:  global
        .offset:         88
        .size:           8
        .value_kind:     global_buffer
      - .address_space:  global
        .offset:         96
        .size:           8
        .value_kind:     global_buffer
      - .offset:         104
        .size:           4
        .value_kind:     hidden_block_count_x
      - .offset:         108
        .size:           4
        .value_kind:     hidden_block_count_y
      - .offset:         112
        .size:           4
        .value_kind:     hidden_block_count_z
      - .offset:         116
        .size:           2
        .value_kind:     hidden_group_size_x
      - .offset:         118
        .size:           2
        .value_kind:     hidden_group_size_y
      - .offset:         120
        .size:           2
        .value_kind:     hidden_group_size_z
      - .offset:         122
        .size:           2
        .value_kind:     hidden_remainder_x
      - .offset:         124
        .size:           2
        .value_kind:     hidden_remainder_y
      - .offset:         126
        .size:           2
        .value_kind:     hidden_remainder_z
      - .offset:         144
        .size:           8
        .value_kind:     hidden_global_offset_x
      - .offset:         152
        .size:           8
        .value_kind:     hidden_global_offset_y
      - .offset:         160
        .size:           8
        .value_kind:     hidden_global_offset_z
      - .offset:         168
        .size:           2
        .value_kind:     hidden_grid_dims
      - .offset:         224
        .size:           4
        .value_kind:     hidden_dynamic_lds_size
    .group_segment_fixed_size: 0
    .kernarg_segment_align: 8
    .kernarg_segment_size: 360
    .language:       OpenCL C
    .language_version:
      - 2
      - 0
    .max_flat_workgroup_size: 256
    .name:           _ZN2at6native12_GLOBAL__N_121max_pool_forward_nhwcIN3c104HalfEiEEvPKT_iT0_S8_S8_S8_S8_iiiiiiiiS8_S8_S8_S8_iiPS5_Pl
    .private_segment_fixed_size: 0
    .sgpr_count:     50
    .sgpr_spill_count: 0
    .symbol:         _ZN2at6native12_GLOBAL__N_121max_pool_forward_nhwcIN3c104HalfEiEEvPKT_iT0_S8_S8_S8_S8_iiiiiiiiS8_S8_S8_S8_iiPS5_Pl.kd
    .uniform_work_group_size: 1
    .uses_dynamic_stack: false
    .vgpr_count:     45
    .vgpr_spill_count: 0
    .wavefront_size: 32
    .workgroup_processor_mode: 1
  - .args:
      - .address_space:  global
        .offset:         0
        .size:           8
        .value_kind:     global_buffer
      - .offset:         8
        .size:           4
        .value_kind:     by_value
      - .offset:         16
        .size:           8
        .value_kind:     by_value
      - .offset:         24
        .size:           8
        .value_kind:     by_value
      - .offset:         32
        .size:           8
        .value_kind:     by_value
      - .offset:         40
        .size:           8
        .value_kind:     by_value
      - .offset:         48
        .size:           8
        .value_kind:     by_value
      - .offset:         56
        .size:           4
        .value_kind:     by_value
      - .offset:         60
        .size:           4
        .value_kind:     by_value
      - .offset:         64
        .size:           4
        .value_kind:     by_value
      - .offset:         68
        .size:           4
        .value_kind:     by_value
      - .offset:         72
        .size:           4
        .value_kind:     by_value
      - .offset:         76
        .size:           4
        .value_kind:     by_value
      - .offset:         80
        .size:           4
        .value_kind:     by_value
      - .offset:         84
        .size:           4
        .value_kind:     by_value
      - .offset:         88
        .size:           8
        .value_kind:     by_value
      - .offset:         96
        .size:           8
        .value_kind:     by_value
      - .offset:         104
        .size:           8
        .value_kind:     by_value
      - .offset:         112
        .size:           8
        .value_kind:     by_value
      - .offset:         120
        .size:           4
        .value_kind:     by_value
      - .offset:         124
        .size:           4
        .value_kind:     by_value
      - .address_space:  global
        .offset:         128
        .size:           8
        .value_kind:     global_buffer
      - .address_space:  global
        .offset:         136
        .size:           8
        .value_kind:     global_buffer
      - .offset:         144
        .size:           4
        .value_kind:     hidden_block_count_x
      - .offset:         148
        .size:           4
        .value_kind:     hidden_block_count_y
      - .offset:         152
        .size:           4
        .value_kind:     hidden_block_count_z
      - .offset:         156
        .size:           2
        .value_kind:     hidden_group_size_x
      - .offset:         158
        .size:           2
        .value_kind:     hidden_group_size_y
      - .offset:         160
        .size:           2
        .value_kind:     hidden_group_size_z
      - .offset:         162
        .size:           2
        .value_kind:     hidden_remainder_x
      - .offset:         164
        .size:           2
        .value_kind:     hidden_remainder_y
      - .offset:         166
        .size:           2
        .value_kind:     hidden_remainder_z
      - .offset:         184
        .size:           8
        .value_kind:     hidden_global_offset_x
      - .offset:         192
        .size:           8
        .value_kind:     hidden_global_offset_y
      - .offset:         200
        .size:           8
        .value_kind:     hidden_global_offset_z
      - .offset:         208
        .size:           2
        .value_kind:     hidden_grid_dims
      - .offset:         264
        .size:           4
        .value_kind:     hidden_dynamic_lds_size
    .group_segment_fixed_size: 0
    .kernarg_segment_align: 8
    .kernarg_segment_size: 400
    .language:       OpenCL C
    .language_version:
      - 2
      - 0
    .max_flat_workgroup_size: 256
    .name:           _ZN2at6native12_GLOBAL__N_121max_pool_forward_nhwcIN3c104HalfElEEvPKT_iT0_S8_S8_S8_S8_iiiiiiiiS8_S8_S8_S8_iiPS5_Pl
    .private_segment_fixed_size: 0
    .sgpr_count:     74
    .sgpr_spill_count: 0
    .symbol:         _ZN2at6native12_GLOBAL__N_121max_pool_forward_nhwcIN3c104HalfElEEvPKT_iT0_S8_S8_S8_S8_iiiiiiiiS8_S8_S8_S8_iiPS5_Pl.kd
    .uniform_work_group_size: 1
    .uses_dynamic_stack: false
    .vgpr_count:     62
    .vgpr_spill_count: 0
    .wavefront_size: 32
    .workgroup_processor_mode: 1
  - .args:
      - .offset:         0
        .size:           4
        .value_kind:     by_value
      - .address_space:  global
        .offset:         8
        .size:           8
        .value_kind:     global_buffer
      - .offset:         16
        .size:           8
        .value_kind:     by_value
      - .offset:         24
        .size:           8
        .value_kind:     by_value
      - .offset:         32
        .size:           8
        .value_kind:     by_value
      - .offset:         40
        .size:           4
        .value_kind:     by_value
      - .offset:         44
        .size:           4
        .value_kind:     by_value
      - .offset:         48
        .size:           4
        .value_kind:     by_value
      - .offset:         52
        .size:           4
        .value_kind:     by_value
      - .offset:         56
        .size:           4
        .value_kind:     by_value
      - .offset:         60
        .size:           4
        .value_kind:     by_value
      - .offset:         64
        .size:           4
        .value_kind:     by_value
      - .offset:         68
        .size:           4
        .value_kind:     by_value
      - .offset:         72
        .size:           4
        .value_kind:     by_value
      - .offset:         76
        .size:           4
        .value_kind:     by_value
      - .address_space:  global
        .offset:         80
        .size:           8
        .value_kind:     global_buffer
      - .address_space:  global
        .offset:         88
        .size:           8
        .value_kind:     global_buffer
      - .offset:         96
        .size:           4
        .value_kind:     hidden_block_count_x
      - .offset:         100
        .size:           4
        .value_kind:     hidden_block_count_y
      - .offset:         104
        .size:           4
        .value_kind:     hidden_block_count_z
      - .offset:         108
        .size:           2
        .value_kind:     hidden_group_size_x
      - .offset:         110
        .size:           2
        .value_kind:     hidden_group_size_y
      - .offset:         112
        .size:           2
        .value_kind:     hidden_group_size_z
      - .offset:         114
        .size:           2
        .value_kind:     hidden_remainder_x
      - .offset:         116
        .size:           2
        .value_kind:     hidden_remainder_y
      - .offset:         118
        .size:           2
        .value_kind:     hidden_remainder_z
      - .offset:         136
        .size:           8
        .value_kind:     hidden_global_offset_x
      - .offset:         144
        .size:           8
        .value_kind:     hidden_global_offset_y
      - .offset:         152
        .size:           8
        .value_kind:     hidden_global_offset_z
      - .offset:         160
        .size:           2
        .value_kind:     hidden_grid_dims
    .group_segment_fixed_size: 0
    .kernarg_segment_align: 8
    .kernarg_segment_size: 352
    .language:       OpenCL C
    .language_version:
      - 2
      - 0
    .max_flat_workgroup_size: 1024
    .name:           _ZN2at6native12_GLOBAL__N_121max_pool_forward_nchwIN3c104HalfEiEEvT0_PKT_llliiiiiiiiiiPS6_Pl
    .private_segment_fixed_size: 0
    .sgpr_count:     51
    .sgpr_spill_count: 0
    .symbol:         _ZN2at6native12_GLOBAL__N_121max_pool_forward_nchwIN3c104HalfEiEEvT0_PKT_llliiiiiiiiiiPS6_Pl.kd
    .uniform_work_group_size: 1
    .uses_dynamic_stack: false
    .vgpr_count:     16
    .vgpr_spill_count: 0
    .wavefront_size: 32
    .workgroup_processor_mode: 1
  - .args:
      - .offset:         0
        .size:           8
        .value_kind:     by_value
      - .address_space:  global
        .offset:         8
        .size:           8
        .value_kind:     global_buffer
      - .offset:         16
        .size:           8
        .value_kind:     by_value
      - .offset:         24
        .size:           8
        .value_kind:     by_value
      - .offset:         32
        .size:           8
        .value_kind:     by_value
      - .offset:         40
        .size:           4
        .value_kind:     by_value
      - .offset:         44
        .size:           4
        .value_kind:     by_value
      - .offset:         48
        .size:           4
        .value_kind:     by_value
      - .offset:         52
        .size:           4
        .value_kind:     by_value
      - .offset:         56
        .size:           4
        .value_kind:     by_value
      - .offset:         60
        .size:           4
        .value_kind:     by_value
      - .offset:         64
        .size:           4
        .value_kind:     by_value
      - .offset:         68
        .size:           4
        .value_kind:     by_value
      - .offset:         72
        .size:           4
        .value_kind:     by_value
      - .offset:         76
        .size:           4
        .value_kind:     by_value
      - .address_space:  global
        .offset:         80
        .size:           8
        .value_kind:     global_buffer
      - .address_space:  global
        .offset:         88
        .size:           8
        .value_kind:     global_buffer
      - .offset:         96
        .size:           4
        .value_kind:     hidden_block_count_x
      - .offset:         100
        .size:           4
        .value_kind:     hidden_block_count_y
      - .offset:         104
        .size:           4
        .value_kind:     hidden_block_count_z
      - .offset:         108
        .size:           2
        .value_kind:     hidden_group_size_x
      - .offset:         110
        .size:           2
        .value_kind:     hidden_group_size_y
      - .offset:         112
        .size:           2
        .value_kind:     hidden_group_size_z
      - .offset:         114
        .size:           2
        .value_kind:     hidden_remainder_x
      - .offset:         116
        .size:           2
        .value_kind:     hidden_remainder_y
      - .offset:         118
        .size:           2
        .value_kind:     hidden_remainder_z
      - .offset:         136
        .size:           8
        .value_kind:     hidden_global_offset_x
      - .offset:         144
        .size:           8
        .value_kind:     hidden_global_offset_y
      - .offset:         152
        .size:           8
        .value_kind:     hidden_global_offset_z
      - .offset:         160
        .size:           2
        .value_kind:     hidden_grid_dims
    .group_segment_fixed_size: 0
    .kernarg_segment_align: 8
    .kernarg_segment_size: 352
    .language:       OpenCL C
    .language_version:
      - 2
      - 0
    .max_flat_workgroup_size: 1024
    .name:           _ZN2at6native12_GLOBAL__N_121max_pool_forward_nchwIN3c104HalfElEEvT0_PKT_llliiiiiiiiiiPS6_Pl
    .private_segment_fixed_size: 0
    .sgpr_count:     62
    .sgpr_spill_count: 0
    .symbol:         _ZN2at6native12_GLOBAL__N_121max_pool_forward_nchwIN3c104HalfElEEvT0_PKT_llliiiiiiiiiiPS6_Pl.kd
    .uniform_work_group_size: 1
    .uses_dynamic_stack: false
    .vgpr_count:     25
    .vgpr_spill_count: 0
    .wavefront_size: 32
    .workgroup_processor_mode: 1
  - .args:
      - .address_space:  global
        .offset:         0
        .size:           8
        .value_kind:     global_buffer
      - .offset:         8
        .size:           4
        .value_kind:     by_value
      - .offset:         12
        .size:           4
        .value_kind:     by_value
      - .offset:         16
        .size:           4
        .value_kind:     by_value
      - .offset:         20
        .size:           4
        .value_kind:     by_value
      - .offset:         24
        .size:           4
        .value_kind:     by_value
      - .offset:         28
        .size:           4
        .value_kind:     by_value
      - .offset:         32
        .size:           4
        .value_kind:     by_value
      - .offset:         36
        .size:           4
        .value_kind:     by_value
      - .offset:         40
        .size:           4
        .value_kind:     by_value
      - .offset:         44
        .size:           4
        .value_kind:     by_value
      - .offset:         48
        .size:           4
        .value_kind:     by_value
      - .offset:         52
        .size:           4
        .value_kind:     by_value
      - .offset:         56
        .size:           4
        .value_kind:     by_value
      - .offset:         60
        .size:           4
        .value_kind:     by_value
      - .offset:         64
        .size:           4
        .value_kind:     by_value
      - .offset:         68
        .size:           4
        .value_kind:     by_value
      - .offset:         72
        .size:           4
        .value_kind:     by_value
      - .offset:         76
        .size:           4
        .value_kind:     by_value
      - .offset:         80
        .size:           4
        .value_kind:     by_value
      - .offset:         84
        .size:           4
        .value_kind:     by_value
      - .address_space:  global
        .offset:         88
        .size:           8
        .value_kind:     global_buffer
      - .address_space:  global
        .offset:         96
        .size:           8
        .value_kind:     global_buffer
      - .offset:         104
        .size:           4
        .value_kind:     hidden_block_count_x
      - .offset:         108
        .size:           4
        .value_kind:     hidden_block_count_y
      - .offset:         112
        .size:           4
        .value_kind:     hidden_block_count_z
      - .offset:         116
        .size:           2
        .value_kind:     hidden_group_size_x
      - .offset:         118
        .size:           2
        .value_kind:     hidden_group_size_y
      - .offset:         120
        .size:           2
        .value_kind:     hidden_group_size_z
      - .offset:         122
        .size:           2
        .value_kind:     hidden_remainder_x
      - .offset:         124
        .size:           2
        .value_kind:     hidden_remainder_y
      - .offset:         126
        .size:           2
        .value_kind:     hidden_remainder_z
      - .offset:         144
        .size:           8
        .value_kind:     hidden_global_offset_x
      - .offset:         152
        .size:           8
        .value_kind:     hidden_global_offset_y
      - .offset:         160
        .size:           8
        .value_kind:     hidden_global_offset_z
      - .offset:         168
        .size:           2
        .value_kind:     hidden_grid_dims
      - .offset:         224
        .size:           4
        .value_kind:     hidden_dynamic_lds_size
    .group_segment_fixed_size: 0
    .kernarg_segment_align: 8
    .kernarg_segment_size: 360
    .language:       OpenCL C
    .language_version:
      - 2
      - 0
    .max_flat_workgroup_size: 256
    .name:           _ZN2at6native12_GLOBAL__N_121max_pool_forward_nhwcIN3c108BFloat16EiEEvPKT_iT0_S8_S8_S8_S8_iiiiiiiiS8_S8_S8_S8_iiPS5_Pl
    .private_segment_fixed_size: 0
    .sgpr_count:     50
    .sgpr_spill_count: 0
    .symbol:         _ZN2at6native12_GLOBAL__N_121max_pool_forward_nhwcIN3c108BFloat16EiEEvPKT_iT0_S8_S8_S8_S8_iiiiiiiiS8_S8_S8_S8_iiPS5_Pl.kd
    .uniform_work_group_size: 1
    .uses_dynamic_stack: false
    .vgpr_count:     45
    .vgpr_spill_count: 0
    .wavefront_size: 32
    .workgroup_processor_mode: 1
  - .args:
      - .address_space:  global
        .offset:         0
        .size:           8
        .value_kind:     global_buffer
      - .offset:         8
        .size:           4
        .value_kind:     by_value
      - .offset:         16
        .size:           8
        .value_kind:     by_value
      - .offset:         24
        .size:           8
        .value_kind:     by_value
      - .offset:         32
        .size:           8
        .value_kind:     by_value
      - .offset:         40
        .size:           8
        .value_kind:     by_value
      - .offset:         48
        .size:           8
        .value_kind:     by_value
      - .offset:         56
        .size:           4
        .value_kind:     by_value
      - .offset:         60
        .size:           4
        .value_kind:     by_value
      - .offset:         64
        .size:           4
        .value_kind:     by_value
      - .offset:         68
        .size:           4
        .value_kind:     by_value
      - .offset:         72
        .size:           4
        .value_kind:     by_value
      - .offset:         76
        .size:           4
        .value_kind:     by_value
      - .offset:         80
        .size:           4
        .value_kind:     by_value
      - .offset:         84
        .size:           4
        .value_kind:     by_value
      - .offset:         88
        .size:           8
        .value_kind:     by_value
      - .offset:         96
        .size:           8
        .value_kind:     by_value
      - .offset:         104
        .size:           8
        .value_kind:     by_value
      - .offset:         112
        .size:           8
        .value_kind:     by_value
      - .offset:         120
        .size:           4
        .value_kind:     by_value
      - .offset:         124
        .size:           4
        .value_kind:     by_value
      - .address_space:  global
        .offset:         128
        .size:           8
        .value_kind:     global_buffer
      - .address_space:  global
        .offset:         136
        .size:           8
        .value_kind:     global_buffer
      - .offset:         144
        .size:           4
        .value_kind:     hidden_block_count_x
      - .offset:         148
        .size:           4
        .value_kind:     hidden_block_count_y
      - .offset:         152
        .size:           4
        .value_kind:     hidden_block_count_z
      - .offset:         156
        .size:           2
        .value_kind:     hidden_group_size_x
      - .offset:         158
        .size:           2
        .value_kind:     hidden_group_size_y
      - .offset:         160
        .size:           2
        .value_kind:     hidden_group_size_z
      - .offset:         162
        .size:           2
        .value_kind:     hidden_remainder_x
      - .offset:         164
        .size:           2
        .value_kind:     hidden_remainder_y
      - .offset:         166
        .size:           2
        .value_kind:     hidden_remainder_z
      - .offset:         184
        .size:           8
        .value_kind:     hidden_global_offset_x
      - .offset:         192
        .size:           8
        .value_kind:     hidden_global_offset_y
      - .offset:         200
        .size:           8
        .value_kind:     hidden_global_offset_z
      - .offset:         208
        .size:           2
        .value_kind:     hidden_grid_dims
      - .offset:         264
        .size:           4
        .value_kind:     hidden_dynamic_lds_size
    .group_segment_fixed_size: 0
    .kernarg_segment_align: 8
    .kernarg_segment_size: 400
    .language:       OpenCL C
    .language_version:
      - 2
      - 0
    .max_flat_workgroup_size: 256
    .name:           _ZN2at6native12_GLOBAL__N_121max_pool_forward_nhwcIN3c108BFloat16ElEEvPKT_iT0_S8_S8_S8_S8_iiiiiiiiS8_S8_S8_S8_iiPS5_Pl
    .private_segment_fixed_size: 0
    .sgpr_count:     74
    .sgpr_spill_count: 0
    .symbol:         _ZN2at6native12_GLOBAL__N_121max_pool_forward_nhwcIN3c108BFloat16ElEEvPKT_iT0_S8_S8_S8_S8_iiiiiiiiS8_S8_S8_S8_iiPS5_Pl.kd
    .uniform_work_group_size: 1
    .uses_dynamic_stack: false
    .vgpr_count:     62
    .vgpr_spill_count: 0
    .wavefront_size: 32
    .workgroup_processor_mode: 1
  - .args:
      - .offset:         0
        .size:           4
        .value_kind:     by_value
      - .address_space:  global
        .offset:         8
        .size:           8
        .value_kind:     global_buffer
      - .offset:         16
        .size:           8
        .value_kind:     by_value
      - .offset:         24
        .size:           8
        .value_kind:     by_value
      - .offset:         32
        .size:           8
        .value_kind:     by_value
      - .offset:         40
        .size:           4
        .value_kind:     by_value
      - .offset:         44
        .size:           4
        .value_kind:     by_value
      - .offset:         48
        .size:           4
        .value_kind:     by_value
      - .offset:         52
        .size:           4
        .value_kind:     by_value
      - .offset:         56
        .size:           4
        .value_kind:     by_value
      - .offset:         60
        .size:           4
        .value_kind:     by_value
      - .offset:         64
        .size:           4
        .value_kind:     by_value
      - .offset:         68
        .size:           4
        .value_kind:     by_value
      - .offset:         72
        .size:           4
        .value_kind:     by_value
      - .offset:         76
        .size:           4
        .value_kind:     by_value
      - .address_space:  global
        .offset:         80
        .size:           8
        .value_kind:     global_buffer
      - .address_space:  global
        .offset:         88
        .size:           8
        .value_kind:     global_buffer
      - .offset:         96
        .size:           4
        .value_kind:     hidden_block_count_x
      - .offset:         100
        .size:           4
        .value_kind:     hidden_block_count_y
      - .offset:         104
        .size:           4
        .value_kind:     hidden_block_count_z
      - .offset:         108
        .size:           2
        .value_kind:     hidden_group_size_x
      - .offset:         110
        .size:           2
        .value_kind:     hidden_group_size_y
      - .offset:         112
        .size:           2
        .value_kind:     hidden_group_size_z
      - .offset:         114
        .size:           2
        .value_kind:     hidden_remainder_x
      - .offset:         116
        .size:           2
        .value_kind:     hidden_remainder_y
      - .offset:         118
        .size:           2
        .value_kind:     hidden_remainder_z
      - .offset:         136
        .size:           8
        .value_kind:     hidden_global_offset_x
      - .offset:         144
        .size:           8
        .value_kind:     hidden_global_offset_y
      - .offset:         152
        .size:           8
        .value_kind:     hidden_global_offset_z
      - .offset:         160
        .size:           2
        .value_kind:     hidden_grid_dims
    .group_segment_fixed_size: 0
    .kernarg_segment_align: 8
    .kernarg_segment_size: 352
    .language:       OpenCL C
    .language_version:
      - 2
      - 0
    .max_flat_workgroup_size: 1024
    .name:           _ZN2at6native12_GLOBAL__N_121max_pool_forward_nchwIN3c108BFloat16EiEEvT0_PKT_llliiiiiiiiiiPS6_Pl
    .private_segment_fixed_size: 0
    .sgpr_count:     51
    .sgpr_spill_count: 0
    .symbol:         _ZN2at6native12_GLOBAL__N_121max_pool_forward_nchwIN3c108BFloat16EiEEvT0_PKT_llliiiiiiiiiiPS6_Pl.kd
    .uniform_work_group_size: 1
    .uses_dynamic_stack: false
    .vgpr_count:     18
    .vgpr_spill_count: 0
    .wavefront_size: 32
    .workgroup_processor_mode: 1
  - .args:
      - .offset:         0
        .size:           8
        .value_kind:     by_value
      - .address_space:  global
        .offset:         8
        .size:           8
        .value_kind:     global_buffer
      - .offset:         16
        .size:           8
        .value_kind:     by_value
      - .offset:         24
        .size:           8
        .value_kind:     by_value
      - .offset:         32
        .size:           8
        .value_kind:     by_value
      - .offset:         40
        .size:           4
        .value_kind:     by_value
      - .offset:         44
        .size:           4
        .value_kind:     by_value
      - .offset:         48
        .size:           4
        .value_kind:     by_value
      - .offset:         52
        .size:           4
        .value_kind:     by_value
      - .offset:         56
        .size:           4
        .value_kind:     by_value
      - .offset:         60
        .size:           4
        .value_kind:     by_value
      - .offset:         64
        .size:           4
        .value_kind:     by_value
      - .offset:         68
        .size:           4
        .value_kind:     by_value
      - .offset:         72
        .size:           4
        .value_kind:     by_value
      - .offset:         76
        .size:           4
        .value_kind:     by_value
      - .address_space:  global
        .offset:         80
        .size:           8
        .value_kind:     global_buffer
      - .address_space:  global
        .offset:         88
        .size:           8
        .value_kind:     global_buffer
      - .offset:         96
        .size:           4
        .value_kind:     hidden_block_count_x
      - .offset:         100
        .size:           4
        .value_kind:     hidden_block_count_y
      - .offset:         104
        .size:           4
        .value_kind:     hidden_block_count_z
      - .offset:         108
        .size:           2
        .value_kind:     hidden_group_size_x
      - .offset:         110
        .size:           2
        .value_kind:     hidden_group_size_y
      - .offset:         112
        .size:           2
        .value_kind:     hidden_group_size_z
      - .offset:         114
        .size:           2
        .value_kind:     hidden_remainder_x
      - .offset:         116
        .size:           2
        .value_kind:     hidden_remainder_y
      - .offset:         118
        .size:           2
        .value_kind:     hidden_remainder_z
      - .offset:         136
        .size:           8
        .value_kind:     hidden_global_offset_x
      - .offset:         144
        .size:           8
        .value_kind:     hidden_global_offset_y
      - .offset:         152
        .size:           8
        .value_kind:     hidden_global_offset_z
      - .offset:         160
        .size:           2
        .value_kind:     hidden_grid_dims
    .group_segment_fixed_size: 0
    .kernarg_segment_align: 8
    .kernarg_segment_size: 352
    .language:       OpenCL C
    .language_version:
      - 2
      - 0
    .max_flat_workgroup_size: 1024
    .name:           _ZN2at6native12_GLOBAL__N_121max_pool_forward_nchwIN3c108BFloat16ElEEvT0_PKT_llliiiiiiiiiiPS6_Pl
    .private_segment_fixed_size: 0
    .sgpr_count:     62
    .sgpr_spill_count: 0
    .symbol:         _ZN2at6native12_GLOBAL__N_121max_pool_forward_nchwIN3c108BFloat16ElEEvT0_PKT_llliiiiiiiiiiPS6_Pl.kd
    .uniform_work_group_size: 1
    .uses_dynamic_stack: false
    .vgpr_count:     25
    .vgpr_spill_count: 0
    .wavefront_size: 32
    .workgroup_processor_mode: 1
  - .args:
      - .address_space:  global
        .offset:         0
        .size:           8
        .value_kind:     global_buffer
      - .address_space:  global
        .offset:         8
        .size:           8
        .value_kind:     global_buffer
      - .offset:         16
        .size:           4
        .value_kind:     by_value
      - .offset:         24
        .size:           8
        .value_kind:     by_value
      - .offset:         32
        .size:           8
        .value_kind:     by_value
      - .offset:         40
        .size:           8
        .value_kind:     by_value
      - .offset:         48
        .size:           4
        .value_kind:     by_value
      - .offset:         52
        .size:           4
        .value_kind:     by_value
      - .offset:         56
        .size:           4
        .value_kind:     by_value
      - .offset:         60
        .size:           4
        .value_kind:     by_value
      - .offset:         64
        .size:           4
        .value_kind:     by_value
      - .offset:         68
        .size:           4
        .value_kind:     by_value
      - .offset:         72
        .size:           4
        .value_kind:     by_value
      - .offset:         76
        .size:           4
        .value_kind:     by_value
      - .offset:         80
        .size:           4
        .value_kind:     by_value
      - .offset:         84
        .size:           4
        .value_kind:     by_value
      - .offset:         88
        .size:           4
        .value_kind:     by_value
      - .offset:         92
        .size:           4
        .value_kind:     by_value
      - .offset:         96
        .size:           4
        .value_kind:     by_value
      - .offset:         100
        .size:           4
        .value_kind:     by_value
      - .offset:         104
        .size:           4
        .value_kind:     by_value
      - .address_space:  global
        .offset:         112
        .size:           8
        .value_kind:     global_buffer
      - .offset:         120
        .size:           4
        .value_kind:     hidden_block_count_x
      - .offset:         124
        .size:           4
        .value_kind:     hidden_block_count_y
      - .offset:         128
        .size:           4
        .value_kind:     hidden_block_count_z
      - .offset:         132
        .size:           2
        .value_kind:     hidden_group_size_x
      - .offset:         134
        .size:           2
        .value_kind:     hidden_group_size_y
      - .offset:         136
        .size:           2
        .value_kind:     hidden_group_size_z
      - .offset:         138
        .size:           2
        .value_kind:     hidden_remainder_x
      - .offset:         140
        .size:           2
        .value_kind:     hidden_remainder_y
      - .offset:         142
        .size:           2
        .value_kind:     hidden_remainder_z
      - .offset:         160
        .size:           8
        .value_kind:     hidden_global_offset_x
      - .offset:         168
        .size:           8
        .value_kind:     hidden_global_offset_y
      - .offset:         176
        .size:           8
        .value_kind:     hidden_global_offset_z
      - .offset:         184
        .size:           2
        .value_kind:     hidden_grid_dims
      - .offset:         240
        .size:           4
        .value_kind:     hidden_dynamic_lds_size
    .group_segment_fixed_size: 0
    .kernarg_segment_align: 8
    .kernarg_segment_size: 376
    .language:       OpenCL C
    .language_version:
      - 2
      - 0
    .max_flat_workgroup_size: 256
    .name:           _ZN2at6native12_GLOBAL__N_122max_pool_backward_nhwcIddEEvPKT_PKlillliiiiiiiiiiiiiiiPS3_
    .private_segment_fixed_size: 0
    .sgpr_count:     54
    .sgpr_spill_count: 0
    .symbol:         _ZN2at6native12_GLOBAL__N_122max_pool_backward_nhwcIddEEvPKT_PKlillliiiiiiiiiiiiiiiPS3_.kd
    .uniform_work_group_size: 1
    .uses_dynamic_stack: false
    .vgpr_count:     51
    .vgpr_spill_count: 0
    .wavefront_size: 32
    .workgroup_processor_mode: 1
  - .args:
      - .address_space:  global
        .offset:         0
        .size:           8
        .value_kind:     global_buffer
      - .address_space:  global
        .offset:         8
        .size:           8
        .value_kind:     global_buffer
      - .offset:         16
        .size:           4
        .value_kind:     by_value
      - .offset:         20
        .size:           4
        .value_kind:     by_value
      - .offset:         24
        .size:           4
        .value_kind:     by_value
      - .offset:         28
        .size:           4
        .value_kind:     by_value
      - .offset:         32
        .size:           4
        .value_kind:     by_value
      - .offset:         36
        .size:           4
        .value_kind:     by_value
      - .offset:         40
        .size:           4
        .value_kind:     by_value
      - .offset:         44
        .size:           4
        .value_kind:     by_value
      - .offset:         48
        .size:           4
        .value_kind:     by_value
      - .offset:         52
        .size:           4
        .value_kind:     by_value
      - .offset:         56
        .size:           4
        .value_kind:     by_value
      - .offset:         60
        .size:           4
        .value_kind:     by_value
      - .offset:         64
        .size:           4
        .value_kind:     by_value
      - .offset:         68
        .size:           4
        .value_kind:     by_value
      - .address_space:  global
        .offset:         72
        .size:           8
        .value_kind:     global_buffer
      - .offset:         80
        .size:           4
        .value_kind:     hidden_block_count_x
      - .offset:         84
        .size:           4
        .value_kind:     hidden_block_count_y
      - .offset:         88
        .size:           4
        .value_kind:     hidden_block_count_z
      - .offset:         92
        .size:           2
        .value_kind:     hidden_group_size_x
      - .offset:         94
        .size:           2
        .value_kind:     hidden_group_size_y
      - .offset:         96
        .size:           2
        .value_kind:     hidden_group_size_z
      - .offset:         98
        .size:           2
        .value_kind:     hidden_remainder_x
      - .offset:         100
        .size:           2
        .value_kind:     hidden_remainder_y
      - .offset:         102
        .size:           2
        .value_kind:     hidden_remainder_z
      - .offset:         120
        .size:           8
        .value_kind:     hidden_global_offset_x
      - .offset:         128
        .size:           8
        .value_kind:     hidden_global_offset_y
      - .offset:         136
        .size:           8
        .value_kind:     hidden_global_offset_z
      - .offset:         144
        .size:           2
        .value_kind:     hidden_grid_dims
    .group_segment_fixed_size: 0
    .kernarg_segment_align: 8
    .kernarg_segment_size: 336
    .language:       OpenCL C
    .language_version:
      - 2
      - 0
    .max_flat_workgroup_size: 256
    .name:           _ZN2at6native12_GLOBAL__N_122max_pool_backward_nchwIddiEEvPKT_PKlT1_S8_S8_S8_S8_S8_iiiiiiiiPS3_
    .private_segment_fixed_size: 0
    .sgpr_count:     56
    .sgpr_spill_count: 0
    .symbol:         _ZN2at6native12_GLOBAL__N_122max_pool_backward_nchwIddiEEvPKT_PKlT1_S8_S8_S8_S8_S8_iiiiiiiiPS3_.kd
    .uniform_work_group_size: 1
    .uses_dynamic_stack: false
    .vgpr_count:     18
    .vgpr_spill_count: 0
    .wavefront_size: 32
    .workgroup_processor_mode: 1
  - .args:
      - .address_space:  global
        .offset:         0
        .size:           8
        .value_kind:     global_buffer
      - .address_space:  global
        .offset:         8
        .size:           8
        .value_kind:     global_buffer
      - .offset:         16
        .size:           8
        .value_kind:     by_value
      - .offset:         24
        .size:           8
        .value_kind:     by_value
      - .offset:         32
        .size:           8
        .value_kind:     by_value
      - .offset:         40
        .size:           8
        .value_kind:     by_value
      - .offset:         48
        .size:           8
        .value_kind:     by_value
      - .offset:         56
        .size:           8
        .value_kind:     by_value
      - .offset:         64
        .size:           4
        .value_kind:     by_value
      - .offset:         68
        .size:           4
        .value_kind:     by_value
      - .offset:         72
        .size:           4
        .value_kind:     by_value
      - .offset:         76
        .size:           4
        .value_kind:     by_value
      - .offset:         80
        .size:           4
        .value_kind:     by_value
      - .offset:         84
        .size:           4
        .value_kind:     by_value
      - .offset:         88
        .size:           4
        .value_kind:     by_value
      - .offset:         92
        .size:           4
        .value_kind:     by_value
      - .address_space:  global
        .offset:         96
        .size:           8
        .value_kind:     global_buffer
      - .offset:         104
        .size:           4
        .value_kind:     hidden_block_count_x
      - .offset:         108
        .size:           4
        .value_kind:     hidden_block_count_y
      - .offset:         112
        .size:           4
        .value_kind:     hidden_block_count_z
      - .offset:         116
        .size:           2
        .value_kind:     hidden_group_size_x
      - .offset:         118
        .size:           2
        .value_kind:     hidden_group_size_y
      - .offset:         120
        .size:           2
        .value_kind:     hidden_group_size_z
      - .offset:         122
        .size:           2
        .value_kind:     hidden_remainder_x
      - .offset:         124
        .size:           2
        .value_kind:     hidden_remainder_y
      - .offset:         126
        .size:           2
        .value_kind:     hidden_remainder_z
      - .offset:         144
        .size:           8
        .value_kind:     hidden_global_offset_x
      - .offset:         152
        .size:           8
        .value_kind:     hidden_global_offset_y
      - .offset:         160
        .size:           8
        .value_kind:     hidden_global_offset_z
      - .offset:         168
        .size:           2
        .value_kind:     hidden_grid_dims
    .group_segment_fixed_size: 0
    .kernarg_segment_align: 8
    .kernarg_segment_size: 360
    .language:       OpenCL C
    .language_version:
      - 2
      - 0
    .max_flat_workgroup_size: 256
    .name:           _ZN2at6native12_GLOBAL__N_122max_pool_backward_nchwIddlEEvPKT_PKlT1_S8_S8_S8_S8_S8_iiiiiiiiPS3_
    .private_segment_fixed_size: 0
    .sgpr_count:     73
    .sgpr_spill_count: 0
    .symbol:         _ZN2at6native12_GLOBAL__N_122max_pool_backward_nchwIddlEEvPKT_PKlT1_S8_S8_S8_S8_S8_iiiiiiiiPS3_.kd
    .uniform_work_group_size: 1
    .uses_dynamic_stack: false
    .vgpr_count:     39
    .vgpr_spill_count: 0
    .wavefront_size: 32
    .workgroup_processor_mode: 1
  - .args:
      - .address_space:  global
        .offset:         0
        .size:           8
        .value_kind:     global_buffer
      - .address_space:  global
        .offset:         8
        .size:           8
        .value_kind:     global_buffer
      - .offset:         16
        .size:           4
        .value_kind:     by_value
      - .offset:         24
        .size:           8
        .value_kind:     by_value
      - .offset:         32
        .size:           8
        .value_kind:     by_value
      - .offset:         40
        .size:           8
        .value_kind:     by_value
      - .offset:         48
        .size:           4
        .value_kind:     by_value
      - .offset:         52
        .size:           4
        .value_kind:     by_value
      - .offset:         56
        .size:           4
        .value_kind:     by_value
      - .offset:         60
        .size:           4
        .value_kind:     by_value
      - .offset:         64
        .size:           4
        .value_kind:     by_value
      - .offset:         68
        .size:           4
        .value_kind:     by_value
      - .offset:         72
        .size:           4
        .value_kind:     by_value
      - .offset:         76
        .size:           4
        .value_kind:     by_value
      - .offset:         80
        .size:           4
        .value_kind:     by_value
      - .offset:         84
        .size:           4
        .value_kind:     by_value
      - .offset:         88
        .size:           4
        .value_kind:     by_value
      - .offset:         92
        .size:           4
        .value_kind:     by_value
      - .offset:         96
        .size:           4
        .value_kind:     by_value
      - .offset:         100
        .size:           4
        .value_kind:     by_value
      - .offset:         104
        .size:           4
        .value_kind:     by_value
      - .address_space:  global
        .offset:         112
        .size:           8
        .value_kind:     global_buffer
      - .offset:         120
        .size:           4
        .value_kind:     hidden_block_count_x
      - .offset:         124
        .size:           4
        .value_kind:     hidden_block_count_y
      - .offset:         128
        .size:           4
        .value_kind:     hidden_block_count_z
      - .offset:         132
        .size:           2
        .value_kind:     hidden_group_size_x
      - .offset:         134
        .size:           2
        .value_kind:     hidden_group_size_y
      - .offset:         136
        .size:           2
        .value_kind:     hidden_group_size_z
      - .offset:         138
        .size:           2
        .value_kind:     hidden_remainder_x
      - .offset:         140
        .size:           2
        .value_kind:     hidden_remainder_y
      - .offset:         142
        .size:           2
        .value_kind:     hidden_remainder_z
      - .offset:         160
        .size:           8
        .value_kind:     hidden_global_offset_x
      - .offset:         168
        .size:           8
        .value_kind:     hidden_global_offset_y
      - .offset:         176
        .size:           8
        .value_kind:     hidden_global_offset_z
      - .offset:         184
        .size:           2
        .value_kind:     hidden_grid_dims
      - .offset:         240
        .size:           4
        .value_kind:     hidden_dynamic_lds_size
    .group_segment_fixed_size: 0
    .kernarg_segment_align: 8
    .kernarg_segment_size: 376
    .language:       OpenCL C
    .language_version:
      - 2
      - 0
    .max_flat_workgroup_size: 256
    .name:           _ZN2at6native12_GLOBAL__N_122max_pool_backward_nhwcIffEEvPKT_PKlillliiiiiiiiiiiiiiiPS3_
    .private_segment_fixed_size: 0
    .sgpr_count:     54
    .sgpr_spill_count: 0
    .symbol:         _ZN2at6native12_GLOBAL__N_122max_pool_backward_nhwcIffEEvPKT_PKlillliiiiiiiiiiiiiiiPS3_.kd
    .uniform_work_group_size: 1
    .uses_dynamic_stack: false
    .vgpr_count:     46
    .vgpr_spill_count: 0
    .wavefront_size: 32
    .workgroup_processor_mode: 1
  - .args:
      - .address_space:  global
        .offset:         0
        .size:           8
        .value_kind:     global_buffer
      - .address_space:  global
        .offset:         8
        .size:           8
        .value_kind:     global_buffer
      - .offset:         16
        .size:           4
        .value_kind:     by_value
      - .offset:         20
        .size:           4
        .value_kind:     by_value
      - .offset:         24
        .size:           4
        .value_kind:     by_value
      - .offset:         28
        .size:           4
        .value_kind:     by_value
      - .offset:         32
        .size:           4
        .value_kind:     by_value
      - .offset:         36
        .size:           4
        .value_kind:     by_value
      - .offset:         40
        .size:           4
        .value_kind:     by_value
      - .offset:         44
        .size:           4
        .value_kind:     by_value
      - .offset:         48
        .size:           4
        .value_kind:     by_value
      - .offset:         52
        .size:           4
        .value_kind:     by_value
      - .offset:         56
        .size:           4
        .value_kind:     by_value
      - .offset:         60
        .size:           4
        .value_kind:     by_value
      - .offset:         64
        .size:           4
        .value_kind:     by_value
      - .offset:         68
        .size:           4
        .value_kind:     by_value
      - .address_space:  global
        .offset:         72
        .size:           8
        .value_kind:     global_buffer
      - .offset:         80
        .size:           4
        .value_kind:     hidden_block_count_x
      - .offset:         84
        .size:           4
        .value_kind:     hidden_block_count_y
      - .offset:         88
        .size:           4
        .value_kind:     hidden_block_count_z
      - .offset:         92
        .size:           2
        .value_kind:     hidden_group_size_x
      - .offset:         94
        .size:           2
        .value_kind:     hidden_group_size_y
      - .offset:         96
        .size:           2
        .value_kind:     hidden_group_size_z
      - .offset:         98
        .size:           2
        .value_kind:     hidden_remainder_x
      - .offset:         100
        .size:           2
        .value_kind:     hidden_remainder_y
      - .offset:         102
        .size:           2
        .value_kind:     hidden_remainder_z
      - .offset:         120
        .size:           8
        .value_kind:     hidden_global_offset_x
      - .offset:         128
        .size:           8
        .value_kind:     hidden_global_offset_y
      - .offset:         136
        .size:           8
        .value_kind:     hidden_global_offset_z
      - .offset:         144
        .size:           2
        .value_kind:     hidden_grid_dims
    .group_segment_fixed_size: 0
    .kernarg_segment_align: 8
    .kernarg_segment_size: 336
    .language:       OpenCL C
    .language_version:
      - 2
      - 0
    .max_flat_workgroup_size: 256
    .name:           _ZN2at6native12_GLOBAL__N_122max_pool_backward_nchwIffiEEvPKT_PKlT1_S8_S8_S8_S8_S8_iiiiiiiiPS3_
    .private_segment_fixed_size: 0
    .sgpr_count:     56
    .sgpr_spill_count: 0
    .symbol:         _ZN2at6native12_GLOBAL__N_122max_pool_backward_nchwIffiEEvPKT_PKlT1_S8_S8_S8_S8_S8_iiiiiiiiPS3_.kd
    .uniform_work_group_size: 1
    .uses_dynamic_stack: false
    .vgpr_count:     16
    .vgpr_spill_count: 0
    .wavefront_size: 32
    .workgroup_processor_mode: 1
  - .args:
      - .address_space:  global
        .offset:         0
        .size:           8
        .value_kind:     global_buffer
      - .address_space:  global
        .offset:         8
        .size:           8
        .value_kind:     global_buffer
      - .offset:         16
        .size:           8
        .value_kind:     by_value
      - .offset:         24
        .size:           8
        .value_kind:     by_value
      - .offset:         32
        .size:           8
        .value_kind:     by_value
      - .offset:         40
        .size:           8
        .value_kind:     by_value
      - .offset:         48
        .size:           8
        .value_kind:     by_value
      - .offset:         56
        .size:           8
        .value_kind:     by_value
      - .offset:         64
        .size:           4
        .value_kind:     by_value
      - .offset:         68
        .size:           4
        .value_kind:     by_value
      - .offset:         72
        .size:           4
        .value_kind:     by_value
      - .offset:         76
        .size:           4
        .value_kind:     by_value
      - .offset:         80
        .size:           4
        .value_kind:     by_value
      - .offset:         84
        .size:           4
        .value_kind:     by_value
      - .offset:         88
        .size:           4
        .value_kind:     by_value
      - .offset:         92
        .size:           4
        .value_kind:     by_value
      - .address_space:  global
        .offset:         96
        .size:           8
        .value_kind:     global_buffer
      - .offset:         104
        .size:           4
        .value_kind:     hidden_block_count_x
      - .offset:         108
        .size:           4
        .value_kind:     hidden_block_count_y
      - .offset:         112
        .size:           4
        .value_kind:     hidden_block_count_z
      - .offset:         116
        .size:           2
        .value_kind:     hidden_group_size_x
      - .offset:         118
        .size:           2
        .value_kind:     hidden_group_size_y
      - .offset:         120
        .size:           2
        .value_kind:     hidden_group_size_z
      - .offset:         122
        .size:           2
        .value_kind:     hidden_remainder_x
      - .offset:         124
        .size:           2
        .value_kind:     hidden_remainder_y
      - .offset:         126
        .size:           2
        .value_kind:     hidden_remainder_z
      - .offset:         144
        .size:           8
        .value_kind:     hidden_global_offset_x
      - .offset:         152
        .size:           8
        .value_kind:     hidden_global_offset_y
      - .offset:         160
        .size:           8
        .value_kind:     hidden_global_offset_z
      - .offset:         168
        .size:           2
        .value_kind:     hidden_grid_dims
    .group_segment_fixed_size: 0
    .kernarg_segment_align: 8
    .kernarg_segment_size: 360
    .language:       OpenCL C
    .language_version:
      - 2
      - 0
    .max_flat_workgroup_size: 256
    .name:           _ZN2at6native12_GLOBAL__N_122max_pool_backward_nchwIfflEEvPKT_PKlT1_S8_S8_S8_S8_S8_iiiiiiiiPS3_
    .private_segment_fixed_size: 0
    .sgpr_count:     83
    .sgpr_spill_count: 0
    .symbol:         _ZN2at6native12_GLOBAL__N_122max_pool_backward_nchwIfflEEvPKT_PKlT1_S8_S8_S8_S8_S8_iiiiiiiiPS3_.kd
    .uniform_work_group_size: 1
    .uses_dynamic_stack: false
    .vgpr_count:     38
    .vgpr_spill_count: 0
    .wavefront_size: 32
    .workgroup_processor_mode: 1
  - .args:
      - .address_space:  global
        .offset:         0
        .size:           8
        .value_kind:     global_buffer
      - .address_space:  global
        .offset:         8
        .size:           8
        .value_kind:     global_buffer
      - .offset:         16
        .size:           4
        .value_kind:     by_value
      - .offset:         24
        .size:           8
        .value_kind:     by_value
      - .offset:         32
        .size:           8
        .value_kind:     by_value
      - .offset:         40
        .size:           8
        .value_kind:     by_value
      - .offset:         48
        .size:           4
        .value_kind:     by_value
      - .offset:         52
        .size:           4
        .value_kind:     by_value
      - .offset:         56
        .size:           4
        .value_kind:     by_value
      - .offset:         60
        .size:           4
        .value_kind:     by_value
      - .offset:         64
        .size:           4
        .value_kind:     by_value
      - .offset:         68
        .size:           4
        .value_kind:     by_value
      - .offset:         72
        .size:           4
        .value_kind:     by_value
      - .offset:         76
        .size:           4
        .value_kind:     by_value
      - .offset:         80
        .size:           4
        .value_kind:     by_value
      - .offset:         84
        .size:           4
        .value_kind:     by_value
      - .offset:         88
        .size:           4
        .value_kind:     by_value
      - .offset:         92
        .size:           4
        .value_kind:     by_value
      - .offset:         96
        .size:           4
        .value_kind:     by_value
      - .offset:         100
        .size:           4
        .value_kind:     by_value
      - .offset:         104
        .size:           4
        .value_kind:     by_value
      - .address_space:  global
        .offset:         112
        .size:           8
        .value_kind:     global_buffer
      - .offset:         120
        .size:           4
        .value_kind:     hidden_block_count_x
      - .offset:         124
        .size:           4
        .value_kind:     hidden_block_count_y
      - .offset:         128
        .size:           4
        .value_kind:     hidden_block_count_z
      - .offset:         132
        .size:           2
        .value_kind:     hidden_group_size_x
      - .offset:         134
        .size:           2
        .value_kind:     hidden_group_size_y
      - .offset:         136
        .size:           2
        .value_kind:     hidden_group_size_z
      - .offset:         138
        .size:           2
        .value_kind:     hidden_remainder_x
      - .offset:         140
        .size:           2
        .value_kind:     hidden_remainder_y
      - .offset:         142
        .size:           2
        .value_kind:     hidden_remainder_z
      - .offset:         160
        .size:           8
        .value_kind:     hidden_global_offset_x
      - .offset:         168
        .size:           8
        .value_kind:     hidden_global_offset_y
      - .offset:         176
        .size:           8
        .value_kind:     hidden_global_offset_z
      - .offset:         184
        .size:           2
        .value_kind:     hidden_grid_dims
      - .offset:         240
        .size:           4
        .value_kind:     hidden_dynamic_lds_size
    .group_segment_fixed_size: 0
    .kernarg_segment_align: 8
    .kernarg_segment_size: 376
    .language:       OpenCL C
    .language_version:
      - 2
      - 0
    .max_flat_workgroup_size: 256
    .name:           _ZN2at6native12_GLOBAL__N_122max_pool_backward_nhwcIN3c104HalfEfEEvPKT_PKlillliiiiiiiiiiiiiiiPS5_
    .private_segment_fixed_size: 0
    .sgpr_count:     54
    .sgpr_spill_count: 0
    .symbol:         _ZN2at6native12_GLOBAL__N_122max_pool_backward_nhwcIN3c104HalfEfEEvPKT_PKlillliiiiiiiiiiiiiiiPS5_.kd
    .uniform_work_group_size: 1
    .uses_dynamic_stack: false
    .vgpr_count:     46
    .vgpr_spill_count: 0
    .wavefront_size: 32
    .workgroup_processor_mode: 1
  - .args:
      - .address_space:  global
        .offset:         0
        .size:           8
        .value_kind:     global_buffer
      - .address_space:  global
        .offset:         8
        .size:           8
        .value_kind:     global_buffer
      - .offset:         16
        .size:           4
        .value_kind:     by_value
      - .offset:         20
        .size:           4
        .value_kind:     by_value
      - .offset:         24
        .size:           4
        .value_kind:     by_value
      - .offset:         28
        .size:           4
        .value_kind:     by_value
      - .offset:         32
        .size:           4
        .value_kind:     by_value
      - .offset:         36
        .size:           4
        .value_kind:     by_value
      - .offset:         40
        .size:           4
        .value_kind:     by_value
      - .offset:         44
        .size:           4
        .value_kind:     by_value
      - .offset:         48
        .size:           4
        .value_kind:     by_value
      - .offset:         52
        .size:           4
        .value_kind:     by_value
      - .offset:         56
        .size:           4
        .value_kind:     by_value
      - .offset:         60
        .size:           4
        .value_kind:     by_value
      - .offset:         64
        .size:           4
        .value_kind:     by_value
      - .offset:         68
        .size:           4
        .value_kind:     by_value
      - .address_space:  global
        .offset:         72
        .size:           8
        .value_kind:     global_buffer
      - .offset:         80
        .size:           4
        .value_kind:     hidden_block_count_x
      - .offset:         84
        .size:           4
        .value_kind:     hidden_block_count_y
      - .offset:         88
        .size:           4
        .value_kind:     hidden_block_count_z
      - .offset:         92
        .size:           2
        .value_kind:     hidden_group_size_x
      - .offset:         94
        .size:           2
        .value_kind:     hidden_group_size_y
      - .offset:         96
        .size:           2
        .value_kind:     hidden_group_size_z
      - .offset:         98
        .size:           2
        .value_kind:     hidden_remainder_x
      - .offset:         100
        .size:           2
        .value_kind:     hidden_remainder_y
      - .offset:         102
        .size:           2
        .value_kind:     hidden_remainder_z
      - .offset:         120
        .size:           8
        .value_kind:     hidden_global_offset_x
      - .offset:         128
        .size:           8
        .value_kind:     hidden_global_offset_y
      - .offset:         136
        .size:           8
        .value_kind:     hidden_global_offset_z
      - .offset:         144
        .size:           2
        .value_kind:     hidden_grid_dims
    .group_segment_fixed_size: 0
    .kernarg_segment_align: 8
    .kernarg_segment_size: 336
    .language:       OpenCL C
    .language_version:
      - 2
      - 0
    .max_flat_workgroup_size: 256
    .name:           _ZN2at6native12_GLOBAL__N_122max_pool_backward_nchwIN3c104HalfEfiEEvPKT_PKlT1_SA_SA_SA_SA_SA_iiiiiiiiPS5_
    .private_segment_fixed_size: 0
    .sgpr_count:     56
    .sgpr_spill_count: 0
    .symbol:         _ZN2at6native12_GLOBAL__N_122max_pool_backward_nchwIN3c104HalfEfiEEvPKT_PKlT1_SA_SA_SA_SA_SA_iiiiiiiiPS5_.kd
    .uniform_work_group_size: 1
    .uses_dynamic_stack: false
    .vgpr_count:     16
    .vgpr_spill_count: 0
    .wavefront_size: 32
    .workgroup_processor_mode: 1
  - .args:
      - .address_space:  global
        .offset:         0
        .size:           8
        .value_kind:     global_buffer
      - .address_space:  global
        .offset:         8
        .size:           8
        .value_kind:     global_buffer
      - .offset:         16
        .size:           8
        .value_kind:     by_value
      - .offset:         24
        .size:           8
        .value_kind:     by_value
      - .offset:         32
        .size:           8
        .value_kind:     by_value
      - .offset:         40
        .size:           8
        .value_kind:     by_value
      - .offset:         48
        .size:           8
        .value_kind:     by_value
      - .offset:         56
        .size:           8
        .value_kind:     by_value
      - .offset:         64
        .size:           4
        .value_kind:     by_value
      - .offset:         68
        .size:           4
        .value_kind:     by_value
      - .offset:         72
        .size:           4
        .value_kind:     by_value
      - .offset:         76
        .size:           4
        .value_kind:     by_value
      - .offset:         80
        .size:           4
        .value_kind:     by_value
      - .offset:         84
        .size:           4
        .value_kind:     by_value
      - .offset:         88
        .size:           4
        .value_kind:     by_value
      - .offset:         92
        .size:           4
        .value_kind:     by_value
      - .address_space:  global
        .offset:         96
        .size:           8
        .value_kind:     global_buffer
      - .offset:         104
        .size:           4
        .value_kind:     hidden_block_count_x
      - .offset:         108
        .size:           4
        .value_kind:     hidden_block_count_y
      - .offset:         112
        .size:           4
        .value_kind:     hidden_block_count_z
      - .offset:         116
        .size:           2
        .value_kind:     hidden_group_size_x
      - .offset:         118
        .size:           2
        .value_kind:     hidden_group_size_y
      - .offset:         120
        .size:           2
        .value_kind:     hidden_group_size_z
      - .offset:         122
        .size:           2
        .value_kind:     hidden_remainder_x
      - .offset:         124
        .size:           2
        .value_kind:     hidden_remainder_y
      - .offset:         126
        .size:           2
        .value_kind:     hidden_remainder_z
      - .offset:         144
        .size:           8
        .value_kind:     hidden_global_offset_x
      - .offset:         152
        .size:           8
        .value_kind:     hidden_global_offset_y
      - .offset:         160
        .size:           8
        .value_kind:     hidden_global_offset_z
      - .offset:         168
        .size:           2
        .value_kind:     hidden_grid_dims
    .group_segment_fixed_size: 0
    .kernarg_segment_align: 8
    .kernarg_segment_size: 360
    .language:       OpenCL C
    .language_version:
      - 2
      - 0
    .max_flat_workgroup_size: 256
    .name:           _ZN2at6native12_GLOBAL__N_122max_pool_backward_nchwIN3c104HalfEflEEvPKT_PKlT1_SA_SA_SA_SA_SA_iiiiiiiiPS5_
    .private_segment_fixed_size: 0
    .sgpr_count:     83
    .sgpr_spill_count: 0
    .symbol:         _ZN2at6native12_GLOBAL__N_122max_pool_backward_nchwIN3c104HalfEflEEvPKT_PKlT1_SA_SA_SA_SA_SA_iiiiiiiiPS5_.kd
    .uniform_work_group_size: 1
    .uses_dynamic_stack: false
    .vgpr_count:     38
    .vgpr_spill_count: 0
    .wavefront_size: 32
    .workgroup_processor_mode: 1
  - .args:
      - .address_space:  global
        .offset:         0
        .size:           8
        .value_kind:     global_buffer
      - .address_space:  global
        .offset:         8
        .size:           8
        .value_kind:     global_buffer
      - .offset:         16
        .size:           4
        .value_kind:     by_value
      - .offset:         24
        .size:           8
        .value_kind:     by_value
      - .offset:         32
        .size:           8
        .value_kind:     by_value
      - .offset:         40
        .size:           8
        .value_kind:     by_value
      - .offset:         48
        .size:           4
        .value_kind:     by_value
      - .offset:         52
        .size:           4
        .value_kind:     by_value
      - .offset:         56
        .size:           4
        .value_kind:     by_value
      - .offset:         60
        .size:           4
        .value_kind:     by_value
      - .offset:         64
        .size:           4
        .value_kind:     by_value
      - .offset:         68
        .size:           4
        .value_kind:     by_value
      - .offset:         72
        .size:           4
        .value_kind:     by_value
      - .offset:         76
        .size:           4
        .value_kind:     by_value
      - .offset:         80
        .size:           4
        .value_kind:     by_value
      - .offset:         84
        .size:           4
        .value_kind:     by_value
      - .offset:         88
        .size:           4
        .value_kind:     by_value
      - .offset:         92
        .size:           4
        .value_kind:     by_value
      - .offset:         96
        .size:           4
        .value_kind:     by_value
      - .offset:         100
        .size:           4
        .value_kind:     by_value
      - .offset:         104
        .size:           4
        .value_kind:     by_value
      - .address_space:  global
        .offset:         112
        .size:           8
        .value_kind:     global_buffer
      - .offset:         120
        .size:           4
        .value_kind:     hidden_block_count_x
      - .offset:         124
        .size:           4
        .value_kind:     hidden_block_count_y
      - .offset:         128
        .size:           4
        .value_kind:     hidden_block_count_z
      - .offset:         132
        .size:           2
        .value_kind:     hidden_group_size_x
      - .offset:         134
        .size:           2
        .value_kind:     hidden_group_size_y
      - .offset:         136
        .size:           2
        .value_kind:     hidden_group_size_z
      - .offset:         138
        .size:           2
        .value_kind:     hidden_remainder_x
      - .offset:         140
        .size:           2
        .value_kind:     hidden_remainder_y
      - .offset:         142
        .size:           2
        .value_kind:     hidden_remainder_z
      - .offset:         160
        .size:           8
        .value_kind:     hidden_global_offset_x
      - .offset:         168
        .size:           8
        .value_kind:     hidden_global_offset_y
      - .offset:         176
        .size:           8
        .value_kind:     hidden_global_offset_z
      - .offset:         184
        .size:           2
        .value_kind:     hidden_grid_dims
      - .offset:         240
        .size:           4
        .value_kind:     hidden_dynamic_lds_size
    .group_segment_fixed_size: 0
    .kernarg_segment_align: 8
    .kernarg_segment_size: 376
    .language:       OpenCL C
    .language_version:
      - 2
      - 0
    .max_flat_workgroup_size: 256
    .name:           _ZN2at6native12_GLOBAL__N_122max_pool_backward_nhwcIN3c108BFloat16EfEEvPKT_PKlillliiiiiiiiiiiiiiiPS5_
    .private_segment_fixed_size: 0
    .sgpr_count:     54
    .sgpr_spill_count: 0
    .symbol:         _ZN2at6native12_GLOBAL__N_122max_pool_backward_nhwcIN3c108BFloat16EfEEvPKT_PKlillliiiiiiiiiiiiiiiPS5_.kd
    .uniform_work_group_size: 1
    .uses_dynamic_stack: false
    .vgpr_count:     46
    .vgpr_spill_count: 0
    .wavefront_size: 32
    .workgroup_processor_mode: 1
  - .args:
      - .address_space:  global
        .offset:         0
        .size:           8
        .value_kind:     global_buffer
      - .address_space:  global
        .offset:         8
        .size:           8
        .value_kind:     global_buffer
      - .offset:         16
        .size:           4
        .value_kind:     by_value
      - .offset:         20
        .size:           4
        .value_kind:     by_value
      - .offset:         24
        .size:           4
        .value_kind:     by_value
      - .offset:         28
        .size:           4
        .value_kind:     by_value
      - .offset:         32
        .size:           4
        .value_kind:     by_value
      - .offset:         36
        .size:           4
        .value_kind:     by_value
      - .offset:         40
        .size:           4
        .value_kind:     by_value
      - .offset:         44
        .size:           4
        .value_kind:     by_value
      - .offset:         48
        .size:           4
        .value_kind:     by_value
      - .offset:         52
        .size:           4
        .value_kind:     by_value
      - .offset:         56
        .size:           4
        .value_kind:     by_value
      - .offset:         60
        .size:           4
        .value_kind:     by_value
      - .offset:         64
        .size:           4
        .value_kind:     by_value
      - .offset:         68
        .size:           4
        .value_kind:     by_value
      - .address_space:  global
        .offset:         72
        .size:           8
        .value_kind:     global_buffer
      - .offset:         80
        .size:           4
        .value_kind:     hidden_block_count_x
      - .offset:         84
        .size:           4
        .value_kind:     hidden_block_count_y
      - .offset:         88
        .size:           4
        .value_kind:     hidden_block_count_z
      - .offset:         92
        .size:           2
        .value_kind:     hidden_group_size_x
      - .offset:         94
        .size:           2
        .value_kind:     hidden_group_size_y
      - .offset:         96
        .size:           2
        .value_kind:     hidden_group_size_z
      - .offset:         98
        .size:           2
        .value_kind:     hidden_remainder_x
      - .offset:         100
        .size:           2
        .value_kind:     hidden_remainder_y
      - .offset:         102
        .size:           2
        .value_kind:     hidden_remainder_z
      - .offset:         120
        .size:           8
        .value_kind:     hidden_global_offset_x
      - .offset:         128
        .size:           8
        .value_kind:     hidden_global_offset_y
      - .offset:         136
        .size:           8
        .value_kind:     hidden_global_offset_z
      - .offset:         144
        .size:           2
        .value_kind:     hidden_grid_dims
    .group_segment_fixed_size: 0
    .kernarg_segment_align: 8
    .kernarg_segment_size: 336
    .language:       OpenCL C
    .language_version:
      - 2
      - 0
    .max_flat_workgroup_size: 256
    .name:           _ZN2at6native12_GLOBAL__N_122max_pool_backward_nchwIN3c108BFloat16EfiEEvPKT_PKlT1_SA_SA_SA_SA_SA_iiiiiiiiPS5_
    .private_segment_fixed_size: 0
    .sgpr_count:     56
    .sgpr_spill_count: 0
    .symbol:         _ZN2at6native12_GLOBAL__N_122max_pool_backward_nchwIN3c108BFloat16EfiEEvPKT_PKlT1_SA_SA_SA_SA_SA_iiiiiiiiPS5_.kd
    .uniform_work_group_size: 1
    .uses_dynamic_stack: false
    .vgpr_count:     16
    .vgpr_spill_count: 0
    .wavefront_size: 32
    .workgroup_processor_mode: 1
  - .args:
      - .address_space:  global
        .offset:         0
        .size:           8
        .value_kind:     global_buffer
      - .address_space:  global
        .offset:         8
        .size:           8
        .value_kind:     global_buffer
      - .offset:         16
        .size:           8
        .value_kind:     by_value
      - .offset:         24
        .size:           8
        .value_kind:     by_value
      - .offset:         32
        .size:           8
        .value_kind:     by_value
      - .offset:         40
        .size:           8
        .value_kind:     by_value
      - .offset:         48
        .size:           8
        .value_kind:     by_value
      - .offset:         56
        .size:           8
        .value_kind:     by_value
      - .offset:         64
        .size:           4
        .value_kind:     by_value
      - .offset:         68
        .size:           4
        .value_kind:     by_value
      - .offset:         72
        .size:           4
        .value_kind:     by_value
      - .offset:         76
        .size:           4
        .value_kind:     by_value
      - .offset:         80
        .size:           4
        .value_kind:     by_value
      - .offset:         84
        .size:           4
        .value_kind:     by_value
      - .offset:         88
        .size:           4
        .value_kind:     by_value
      - .offset:         92
        .size:           4
        .value_kind:     by_value
      - .address_space:  global
        .offset:         96
        .size:           8
        .value_kind:     global_buffer
      - .offset:         104
        .size:           4
        .value_kind:     hidden_block_count_x
      - .offset:         108
        .size:           4
        .value_kind:     hidden_block_count_y
      - .offset:         112
        .size:           4
        .value_kind:     hidden_block_count_z
      - .offset:         116
        .size:           2
        .value_kind:     hidden_group_size_x
      - .offset:         118
        .size:           2
        .value_kind:     hidden_group_size_y
      - .offset:         120
        .size:           2
        .value_kind:     hidden_group_size_z
      - .offset:         122
        .size:           2
        .value_kind:     hidden_remainder_x
      - .offset:         124
        .size:           2
        .value_kind:     hidden_remainder_y
      - .offset:         126
        .size:           2
        .value_kind:     hidden_remainder_z
      - .offset:         144
        .size:           8
        .value_kind:     hidden_global_offset_x
      - .offset:         152
        .size:           8
        .value_kind:     hidden_global_offset_y
      - .offset:         160
        .size:           8
        .value_kind:     hidden_global_offset_z
      - .offset:         168
        .size:           2
        .value_kind:     hidden_grid_dims
    .group_segment_fixed_size: 0
    .kernarg_segment_align: 8
    .kernarg_segment_size: 360
    .language:       OpenCL C
    .language_version:
      - 2
      - 0
    .max_flat_workgroup_size: 256
    .name:           _ZN2at6native12_GLOBAL__N_122max_pool_backward_nchwIN3c108BFloat16EflEEvPKT_PKlT1_SA_SA_SA_SA_SA_iiiiiiiiPS5_
    .private_segment_fixed_size: 0
    .sgpr_count:     83
    .sgpr_spill_count: 0
    .symbol:         _ZN2at6native12_GLOBAL__N_122max_pool_backward_nchwIN3c108BFloat16EflEEvPKT_PKlT1_SA_SA_SA_SA_SA_iiiiiiiiPS5_.kd
    .uniform_work_group_size: 1
    .uses_dynamic_stack: false
    .vgpr_count:     38
    .vgpr_spill_count: 0
    .wavefront_size: 32
    .workgroup_processor_mode: 1
amdhsa.target:   amdgcn-amd-amdhsa--gfx1201
amdhsa.version:
  - 1
  - 2
...

	.end_amdgpu_metadata
